;; amdgpu-corpus repo=ROCm/rocFFT kind=compiled arch=gfx906 opt=O3
	.text
	.amdgcn_target "amdgcn-amd-amdhsa--gfx906"
	.amdhsa_code_object_version 6
	.protected	fft_rtc_back_len1071_factors_17_7_9_wgs_119_tpt_119_halfLds_dp_ip_CI_sbrr_dirReg ; -- Begin function fft_rtc_back_len1071_factors_17_7_9_wgs_119_tpt_119_halfLds_dp_ip_CI_sbrr_dirReg
	.globl	fft_rtc_back_len1071_factors_17_7_9_wgs_119_tpt_119_halfLds_dp_ip_CI_sbrr_dirReg
	.p2align	8
	.type	fft_rtc_back_len1071_factors_17_7_9_wgs_119_tpt_119_halfLds_dp_ip_CI_sbrr_dirReg,@function
fft_rtc_back_len1071_factors_17_7_9_wgs_119_tpt_119_halfLds_dp_ip_CI_sbrr_dirReg: ; @fft_rtc_back_len1071_factors_17_7_9_wgs_119_tpt_119_halfLds_dp_ip_CI_sbrr_dirReg
; %bb.0:
	s_load_dwordx2 s[2:3], s[4:5], 0x18
	s_load_dwordx4 s[8:11], s[4:5], 0x0
	s_load_dwordx2 s[14:15], s[4:5], 0x50
	v_mul_u32_u24_e32 v1, 0x227, v0
	v_add_u32_sdwa v5, s6, v1 dst_sel:DWORD dst_unused:UNUSED_PAD src0_sel:DWORD src1_sel:WORD_1
	s_waitcnt lgkmcnt(0)
	s_load_dwordx2 s[12:13], s[2:3], 0x0
	v_cmp_lt_u64_e64 s[0:1], s[10:11], 2
	v_mov_b32_e32 v3, 0
	v_mov_b32_e32 v1, 0
	;; [unrolled: 1-line block ×3, first 2 shown]
	s_and_b64 vcc, exec, s[0:1]
	v_mov_b32_e32 v2, 0
	s_cbranch_vccnz .LBB0_8
; %bb.1:
	s_load_dwordx2 s[0:1], s[4:5], 0x10
	s_add_u32 s6, s2, 8
	s_addc_u32 s7, s3, 0
	v_mov_b32_e32 v1, 0
	v_mov_b32_e32 v2, 0
	s_waitcnt lgkmcnt(0)
	s_add_u32 s16, s0, 8
	s_addc_u32 s17, s1, 0
	s_mov_b64 s[18:19], 1
.LBB0_2:                                ; =>This Inner Loop Header: Depth=1
	s_load_dwordx2 s[20:21], s[16:17], 0x0
                                        ; implicit-def: $vgpr7_vgpr8
	s_waitcnt lgkmcnt(0)
	v_or_b32_e32 v4, s21, v6
	v_cmp_ne_u64_e32 vcc, 0, v[3:4]
	s_and_saveexec_b64 s[0:1], vcc
	s_xor_b64 s[22:23], exec, s[0:1]
	s_cbranch_execz .LBB0_4
; %bb.3:                                ;   in Loop: Header=BB0_2 Depth=1
	v_cvt_f32_u32_e32 v4, s20
	v_cvt_f32_u32_e32 v7, s21
	s_sub_u32 s0, 0, s20
	s_subb_u32 s1, 0, s21
	v_mac_f32_e32 v4, 0x4f800000, v7
	v_rcp_f32_e32 v4, v4
	v_mul_f32_e32 v4, 0x5f7ffffc, v4
	v_mul_f32_e32 v7, 0x2f800000, v4
	v_trunc_f32_e32 v7, v7
	v_mac_f32_e32 v4, 0xcf800000, v7
	v_cvt_u32_f32_e32 v7, v7
	v_cvt_u32_f32_e32 v4, v4
	v_mul_lo_u32 v8, s0, v7
	v_mul_hi_u32 v9, s0, v4
	v_mul_lo_u32 v11, s1, v4
	v_mul_lo_u32 v10, s0, v4
	v_add_u32_e32 v8, v9, v8
	v_add_u32_e32 v8, v8, v11
	v_mul_hi_u32 v9, v4, v10
	v_mul_lo_u32 v11, v4, v8
	v_mul_hi_u32 v13, v4, v8
	v_mul_hi_u32 v12, v7, v10
	v_mul_lo_u32 v10, v7, v10
	v_mul_hi_u32 v14, v7, v8
	v_add_co_u32_e32 v9, vcc, v9, v11
	v_addc_co_u32_e32 v11, vcc, 0, v13, vcc
	v_mul_lo_u32 v8, v7, v8
	v_add_co_u32_e32 v9, vcc, v9, v10
	v_addc_co_u32_e32 v9, vcc, v11, v12, vcc
	v_addc_co_u32_e32 v10, vcc, 0, v14, vcc
	v_add_co_u32_e32 v8, vcc, v9, v8
	v_addc_co_u32_e32 v9, vcc, 0, v10, vcc
	v_add_co_u32_e32 v4, vcc, v4, v8
	v_addc_co_u32_e32 v7, vcc, v7, v9, vcc
	v_mul_lo_u32 v8, s0, v7
	v_mul_hi_u32 v9, s0, v4
	v_mul_lo_u32 v10, s1, v4
	v_mul_lo_u32 v11, s0, v4
	v_add_u32_e32 v8, v9, v8
	v_add_u32_e32 v8, v8, v10
	v_mul_lo_u32 v12, v4, v8
	v_mul_hi_u32 v13, v4, v11
	v_mul_hi_u32 v14, v4, v8
	;; [unrolled: 1-line block ×3, first 2 shown]
	v_mul_lo_u32 v11, v7, v11
	v_mul_hi_u32 v9, v7, v8
	v_add_co_u32_e32 v12, vcc, v13, v12
	v_addc_co_u32_e32 v13, vcc, 0, v14, vcc
	v_mul_lo_u32 v8, v7, v8
	v_add_co_u32_e32 v11, vcc, v12, v11
	v_addc_co_u32_e32 v10, vcc, v13, v10, vcc
	v_addc_co_u32_e32 v9, vcc, 0, v9, vcc
	v_add_co_u32_e32 v8, vcc, v10, v8
	v_addc_co_u32_e32 v9, vcc, 0, v9, vcc
	v_add_co_u32_e32 v4, vcc, v4, v8
	v_addc_co_u32_e32 v9, vcc, v7, v9, vcc
	v_mad_u64_u32 v[7:8], s[0:1], v5, v9, 0
	v_mul_hi_u32 v10, v5, v4
	v_add_co_u32_e32 v11, vcc, v10, v7
	v_addc_co_u32_e32 v12, vcc, 0, v8, vcc
	v_mad_u64_u32 v[7:8], s[0:1], v6, v4, 0
	v_mad_u64_u32 v[9:10], s[0:1], v6, v9, 0
	v_add_co_u32_e32 v4, vcc, v11, v7
	v_addc_co_u32_e32 v4, vcc, v12, v8, vcc
	v_addc_co_u32_e32 v7, vcc, 0, v10, vcc
	v_add_co_u32_e32 v4, vcc, v4, v9
	v_addc_co_u32_e32 v9, vcc, 0, v7, vcc
	v_mul_lo_u32 v10, s21, v4
	v_mul_lo_u32 v11, s20, v9
	v_mad_u64_u32 v[7:8], s[0:1], s20, v4, 0
	v_add3_u32 v8, v8, v11, v10
	v_sub_u32_e32 v10, v6, v8
	v_mov_b32_e32 v11, s21
	v_sub_co_u32_e32 v7, vcc, v5, v7
	v_subb_co_u32_e64 v10, s[0:1], v10, v11, vcc
	v_subrev_co_u32_e64 v11, s[0:1], s20, v7
	v_subbrev_co_u32_e64 v10, s[0:1], 0, v10, s[0:1]
	v_cmp_le_u32_e64 s[0:1], s21, v10
	v_cndmask_b32_e64 v12, 0, -1, s[0:1]
	v_cmp_le_u32_e64 s[0:1], s20, v11
	v_cndmask_b32_e64 v11, 0, -1, s[0:1]
	v_cmp_eq_u32_e64 s[0:1], s21, v10
	v_cndmask_b32_e64 v10, v12, v11, s[0:1]
	v_add_co_u32_e64 v11, s[0:1], 2, v4
	v_addc_co_u32_e64 v12, s[0:1], 0, v9, s[0:1]
	v_add_co_u32_e64 v13, s[0:1], 1, v4
	v_addc_co_u32_e64 v14, s[0:1], 0, v9, s[0:1]
	v_subb_co_u32_e32 v8, vcc, v6, v8, vcc
	v_cmp_ne_u32_e64 s[0:1], 0, v10
	v_cmp_le_u32_e32 vcc, s21, v8
	v_cndmask_b32_e64 v10, v14, v12, s[0:1]
	v_cndmask_b32_e64 v12, 0, -1, vcc
	v_cmp_le_u32_e32 vcc, s20, v7
	v_cndmask_b32_e64 v7, 0, -1, vcc
	v_cmp_eq_u32_e32 vcc, s21, v8
	v_cndmask_b32_e32 v7, v12, v7, vcc
	v_cmp_ne_u32_e32 vcc, 0, v7
	v_cndmask_b32_e64 v7, v13, v11, s[0:1]
	v_cndmask_b32_e32 v8, v9, v10, vcc
	v_cndmask_b32_e32 v7, v4, v7, vcc
.LBB0_4:                                ;   in Loop: Header=BB0_2 Depth=1
	s_andn2_saveexec_b64 s[0:1], s[22:23]
	s_cbranch_execz .LBB0_6
; %bb.5:                                ;   in Loop: Header=BB0_2 Depth=1
	v_cvt_f32_u32_e32 v4, s20
	s_sub_i32 s22, 0, s20
	v_rcp_iflag_f32_e32 v4, v4
	v_mul_f32_e32 v4, 0x4f7ffffe, v4
	v_cvt_u32_f32_e32 v4, v4
	v_mul_lo_u32 v7, s22, v4
	v_mul_hi_u32 v7, v4, v7
	v_add_u32_e32 v4, v4, v7
	v_mul_hi_u32 v4, v5, v4
	v_mul_lo_u32 v7, v4, s20
	v_add_u32_e32 v8, 1, v4
	v_sub_u32_e32 v7, v5, v7
	v_subrev_u32_e32 v9, s20, v7
	v_cmp_le_u32_e32 vcc, s20, v7
	v_cndmask_b32_e32 v7, v7, v9, vcc
	v_cndmask_b32_e32 v4, v4, v8, vcc
	v_add_u32_e32 v8, 1, v4
	v_cmp_le_u32_e32 vcc, s20, v7
	v_cndmask_b32_e32 v7, v4, v8, vcc
	v_mov_b32_e32 v8, v3
.LBB0_6:                                ;   in Loop: Header=BB0_2 Depth=1
	s_or_b64 exec, exec, s[0:1]
	v_mul_lo_u32 v4, v8, s20
	v_mul_lo_u32 v11, v7, s21
	v_mad_u64_u32 v[9:10], s[0:1], v7, s20, 0
	s_load_dwordx2 s[0:1], s[6:7], 0x0
	s_add_u32 s18, s18, 1
	v_add3_u32 v4, v10, v11, v4
	v_sub_co_u32_e32 v5, vcc, v5, v9
	v_subb_co_u32_e32 v4, vcc, v6, v4, vcc
	s_waitcnt lgkmcnt(0)
	v_mul_lo_u32 v4, s0, v4
	v_mul_lo_u32 v6, s1, v5
	v_mad_u64_u32 v[1:2], s[0:1], s0, v5, v[1:2]
	s_addc_u32 s19, s19, 0
	s_add_u32 s6, s6, 8
	v_add3_u32 v2, v6, v2, v4
	v_mov_b32_e32 v4, s10
	v_mov_b32_e32 v5, s11
	s_addc_u32 s7, s7, 0
	v_cmp_ge_u64_e32 vcc, s[18:19], v[4:5]
	s_add_u32 s16, s16, 8
	s_addc_u32 s17, s17, 0
	s_cbranch_vccnz .LBB0_9
; %bb.7:                                ;   in Loop: Header=BB0_2 Depth=1
	v_mov_b32_e32 v5, v7
	v_mov_b32_e32 v6, v8
	s_branch .LBB0_2
.LBB0_8:
	v_mov_b32_e32 v8, v6
	v_mov_b32_e32 v7, v5
.LBB0_9:
	s_lshl_b64 s[0:1], s[10:11], 3
	s_add_u32 s0, s2, s0
	s_addc_u32 s1, s3, s1
	s_load_dwordx2 s[2:3], s[0:1], 0x0
	s_load_dwordx2 s[6:7], s[4:5], 0x20
	v_mov_b32_e32 v165, 0
                                        ; implicit-def: $vgpr10_vgpr11
                                        ; implicit-def: $vgpr18_vgpr19
                                        ; implicit-def: $vgpr14_vgpr15
                                        ; implicit-def: $vgpr22_vgpr23
                                        ; implicit-def: $vgpr26_vgpr27
                                        ; implicit-def: $vgpr30_vgpr31
                                        ; implicit-def: $vgpr34_vgpr35
                                        ; implicit-def: $vgpr38_vgpr39
                                        ; implicit-def: $vgpr42_vgpr43
                                        ; implicit-def: $vgpr46_vgpr47
                                        ; implicit-def: $vgpr50_vgpr51
                                        ; implicit-def: $vgpr54_vgpr55
                                        ; implicit-def: $vgpr58_vgpr59
                                        ; implicit-def: $vgpr62_vgpr63
                                        ; implicit-def: $vgpr66_vgpr67
	s_waitcnt lgkmcnt(0)
	v_mad_u64_u32 v[80:81], s[0:1], s2, v7, v[1:2]
	s_mov_b32 s0, 0x226b903
	v_mul_hi_u32 v1, v0, s0
	v_mul_lo_u32 v3, s2, v8
	v_mul_lo_u32 v4, s3, v7
	v_cmp_gt_u64_e32 vcc, s[6:7], v[7:8]
	v_mul_u32_u24_e32 v1, 0x77, v1
	v_sub_u32_e32 v164, v0, v1
	v_add3_u32 v81, v4, v81, v3
                                        ; implicit-def: $vgpr6_vgpr7
                                        ; implicit-def: $vgpr2_vgpr3
	s_and_saveexec_b64 s[2:3], vcc
	s_cbranch_execz .LBB0_13
; %bb.10:
	v_cmp_gt_u32_e64 s[0:1], 63, v164
                                        ; implicit-def: $vgpr0_vgpr1
                                        ; implicit-def: $vgpr64_vgpr65
                                        ; implicit-def: $vgpr60_vgpr61
                                        ; implicit-def: $vgpr56_vgpr57
                                        ; implicit-def: $vgpr52_vgpr53
                                        ; implicit-def: $vgpr48_vgpr49
                                        ; implicit-def: $vgpr44_vgpr45
                                        ; implicit-def: $vgpr40_vgpr41
                                        ; implicit-def: $vgpr36_vgpr37
                                        ; implicit-def: $vgpr32_vgpr33
                                        ; implicit-def: $vgpr28_vgpr29
                                        ; implicit-def: $vgpr24_vgpr25
                                        ; implicit-def: $vgpr20_vgpr21
                                        ; implicit-def: $vgpr12_vgpr13
                                        ; implicit-def: $vgpr4_vgpr5
                                        ; implicit-def: $vgpr16_vgpr17
                                        ; implicit-def: $vgpr8_vgpr9
	s_and_saveexec_b64 s[4:5], s[0:1]
	s_cbranch_execz .LBB0_12
; %bb.11:
	v_mad_u64_u32 v[0:1], s[0:1], s12, v164, 0
	v_add_u32_e32 v7, 63, v164
	v_mad_u64_u32 v[4:5], s[0:1], s12, v7, 0
	v_mad_u64_u32 v[1:2], s[0:1], s13, v164, v[1:2]
	v_lshlrev_b64 v[2:3], 4, v[80:81]
	v_mov_b32_e32 v6, s15
	v_add_co_u32_e64 v12, s[0:1], s14, v2
	v_mov_b32_e32 v2, v5
	v_addc_co_u32_e64 v13, s[0:1], v6, v3, s[0:1]
	v_mad_u64_u32 v[2:3], s[0:1], s13, v7, v[2:3]
	v_add_u32_e32 v3, 0x7e, v164
	v_mad_u64_u32 v[6:7], s[0:1], s12, v3, 0
	v_lshlrev_b64 v[0:1], 4, v[0:1]
	v_mov_b32_e32 v5, v2
	v_add_co_u32_e64 v8, s[0:1], v12, v0
	v_mov_b32_e32 v2, v7
	v_addc_co_u32_e64 v9, s[0:1], v13, v1, s[0:1]
	v_lshlrev_b64 v[0:1], 4, v[4:5]
	v_mad_u64_u32 v[2:3], s[0:1], s13, v3, v[2:3]
	v_add_u32_e32 v5, 0xbd, v164
	v_mad_u64_u32 v[3:4], s[0:1], s12, v5, 0
	v_add_co_u32_e64 v10, s[0:1], v12, v0
	v_mov_b32_e32 v7, v2
	v_mov_b32_e32 v2, v4
	v_addc_co_u32_e64 v11, s[0:1], v13, v1, s[0:1]
	v_lshlrev_b64 v[0:1], 4, v[6:7]
	v_mad_u64_u32 v[4:5], s[0:1], s13, v5, v[2:3]
	v_add_u32_e32 v7, 0xfc, v164
	v_mad_u64_u32 v[5:6], s[0:1], s12, v7, 0
	v_add_co_u32_e64 v16, s[0:1], v12, v0
	v_mov_b32_e32 v2, v6
	v_addc_co_u32_e64 v17, s[0:1], v13, v1, s[0:1]
	v_lshlrev_b64 v[0:1], 4, v[3:4]
	v_mad_u64_u32 v[2:3], s[0:1], s13, v7, v[2:3]
	v_add_u32_e32 v7, 0x13b, v164
	v_mad_u64_u32 v[3:4], s[0:1], s12, v7, 0
	v_add_co_u32_e64 v18, s[0:1], v12, v0
	v_mov_b32_e32 v6, v2
	v_mov_b32_e32 v2, v4
	v_addc_co_u32_e64 v19, s[0:1], v13, v1, s[0:1]
	v_lshlrev_b64 v[0:1], 4, v[5:6]
	v_mad_u64_u32 v[4:5], s[0:1], s13, v7, v[2:3]
	v_add_u32_e32 v7, 0x17a, v164
	v_mad_u64_u32 v[5:6], s[0:1], s12, v7, 0
	;; [unrolled: 15-line block ×7, first 2 shown]
	v_add_co_u32_e64 v90, s[0:1], v12, v0
	v_mov_b32_e32 v2, v6
	v_addc_co_u32_e64 v91, s[0:1], v13, v1, s[0:1]
	v_lshlrev_b64 v[0:1], 4, v[3:4]
	v_mad_u64_u32 v[2:3], s[0:1], s13, v7, v[2:3]
	v_add_co_u32_e64 v92, s[0:1], v12, v0
	v_mov_b32_e32 v6, v2
	v_addc_co_u32_e64 v93, s[0:1], v13, v1, s[0:1]
	v_lshlrev_b64 v[0:1], 4, v[5:6]
	v_add_co_u32_e64 v94, s[0:1], v12, v0
	v_addc_co_u32_e64 v95, s[0:1], v13, v1, s[0:1]
	global_load_dwordx4 v[0:3], v[8:9], off
	global_load_dwordx4 v[64:67], v[10:11], off
	;; [unrolled: 1-line block ×15, first 2 shown]
                                        ; kill: killed $vgpr88 killed $vgpr89
                                        ; kill: killed $vgpr70 killed $vgpr71
                                        ; kill: killed $vgpr90 killed $vgpr91
                                        ; kill: killed $vgpr72 killed $vgpr73
                                        ; kill: killed $vgpr74 killed $vgpr75
                                        ; kill: killed $vgpr76 killed $vgpr77
                                        ; kill: killed $vgpr8 killed $vgpr9
                                        ; kill: killed $vgpr78 killed $vgpr79
                                        ; kill: killed $vgpr10 killed $vgpr11
                                        ; kill: killed $vgpr82 killed $vgpr83
                                        ; kill: killed $vgpr16 killed $vgpr17
                                        ; kill: killed $vgpr84 killed $vgpr85
                                        ; kill: killed $vgpr18 killed $vgpr19
                                        ; kill: killed $vgpr86 killed $vgpr87
                                        ; kill: killed $vgpr68 killed $vgpr69
	global_load_dwordx4 v[16:19], v[92:93], off
	global_load_dwordx4 v[8:11], v[94:95], off
.LBB0_12:
	s_or_b64 exec, exec, s[4:5]
	v_mov_b32_e32 v165, v164
.LBB0_13:
	s_or_b64 exec, exec, s[2:3]
	s_waitcnt vmcnt(0)
	v_add_f64 v[68:69], v[66:67], -v[10:11]
	s_mov_b32 s0, 0xeb564b22
	s_mov_b32 s1, 0xbfefdd0d
	v_add_f64 v[70:71], v[8:9], v[64:65]
	v_add_f64 v[72:73], v[62:63], -v[18:19]
	s_mov_b32 s24, 0x3259b75e
	s_mov_b32 s4, 0xacd6c6b4
	;; [unrolled: 1-line block ×3, first 2 shown]
	v_mul_f64 v[112:113], v[68:69], s[0:1]
	s_mov_b32 s22, 0x6c9a05f6
	s_mov_b32 s25, 0x3fb79ee6
	;; [unrolled: 1-line block ×5, first 2 shown]
	v_add_f64 v[74:75], v[16:17], v[60:61]
	v_mul_f64 v[110:111], v[72:73], s[4:5]
	v_fma_f64 v[76:77], v[70:71], s[24:25], -v[112:113]
	v_mul_f64 v[126:127], v[68:69], s[22:23]
	v_mul_f64 v[84:85], v[68:69], s[10:11]
	s_mov_b32 s6, 0x7faef3
	s_mov_b32 s18, 0x923c349f
	;; [unrolled: 1-line block ×12, first 2 shown]
	v_mul_f64 v[120:121], v[68:69], s[18:19]
	v_fma_f64 v[78:79], v[74:75], s[6:7], -v[110:111]
	v_add_f64 v[76:77], v[0:1], v[76:77]
	v_fma_f64 v[86:87], v[70:71], s[34:35], -v[126:127]
	v_mul_f64 v[124:125], v[72:73], s[30:31]
	v_fma_f64 v[88:89], v[70:71], s[20:21], v[84:85]
	v_mul_f64 v[90:91], v[72:73], s[28:29]
	s_mov_b32 s26, 0xc61f0d01
	s_mov_b32 s38, 0x2b2883cd
	;; [unrolled: 1-line block ×6, first 2 shown]
	v_fma_f64 v[82:83], v[70:71], s[26:27], -v[120:121]
	v_mul_f64 v[122:123], v[72:73], s[16:17]
	v_add_f64 v[86:87], v[0:1], v[86:87]
	v_fma_f64 v[94:95], v[74:75], s[26:27], -v[124:125]
	v_add_f64 v[88:89], v[0:1], v[88:89]
	v_fma_f64 v[96:97], v[74:75], s[38:39], v[90:91]
	v_mul_f64 v[98:99], v[68:69], s[4:5]
	v_add_f64 v[100:101], v[78:79], v[76:77]
	v_fma_f64 v[76:77], v[70:71], s[20:21], -v[84:85]
	s_mov_b32 s36, 0x5d8e7cdc
	s_mov_b32 s37, 0x3fd71e95
	v_add_f64 v[82:83], v[0:1], v[82:83]
	v_fma_f64 v[92:93], v[74:75], s[20:21], -v[122:123]
	v_add_f64 v[84:85], v[94:95], v[86:87]
	v_add_f64 v[86:87], v[96:97], v[88:89]
	v_fma_f64 v[78:79], v[70:71], s[6:7], v[98:99]
	v_mul_f64 v[88:89], v[72:73], s[36:37]
	v_add_f64 v[94:95], v[0:1], v[76:77]
	v_add_f64 v[76:77], v[58:59], -v[6:7]
	s_mov_b32 s44, 0x370991
	s_mov_b32 s45, 0x3fedd6d0
	v_add_f64 v[82:83], v[92:93], v[82:83]
	v_fma_f64 v[92:93], v[70:71], s[6:7], -v[98:99]
	v_fma_f64 v[90:91], v[74:75], s[38:39], -v[90:91]
	v_add_f64 v[96:97], v[0:1], v[78:79]
	v_fma_f64 v[98:99], v[74:75], s[44:45], v[88:89]
	v_add_f64 v[78:79], v[4:5], v[56:57]
	v_mul_f64 v[128:129], v[76:77], s[30:31]
	s_mov_b32 s42, 0x2a9d6da3
	s_mov_b32 s43, 0x3fe58eea
	;; [unrolled: 1-line block ×4, first 2 shown]
	v_add_f64 v[92:93], v[0:1], v[92:93]
	v_mul_f64 v[130:131], v[76:77], s[42:43]
	v_mul_f64 v[134:135], v[76:77], s[40:41]
	;; [unrolled: 1-line block ×3, first 2 shown]
	v_fma_f64 v[88:89], v[74:75], s[44:45], -v[88:89]
	v_add_f64 v[90:91], v[90:91], v[94:95]
	v_fma_f64 v[94:95], v[78:79], s[26:27], -v[128:129]
	v_add_f64 v[114:115], v[98:99], v[96:97]
	v_mul_f64 v[98:99], v[76:77], s[10:11]
	v_add_f64 v[96:97], v[54:55], -v[14:15]
	s_mov_b32 s48, 0x75d4884
	s_mov_b32 s49, 0x3fe7a5f6
	v_fma_f64 v[104:105], v[78:79], s[48:49], -v[130:131]
	v_fma_f64 v[106:107], v[78:79], s[44:45], -v[134:135]
	v_fma_f64 v[108:109], v[78:79], s[24:25], v[102:103]
	v_add_f64 v[88:89], v[88:89], v[92:93]
	v_add_f64 v[92:93], v[94:95], v[100:101]
	v_fma_f64 v[94:95], v[78:79], s[24:25], -v[102:103]
	v_fma_f64 v[100:101], v[78:79], s[20:21], v[98:99]
	v_fma_f64 v[102:103], v[78:79], s[20:21], -v[98:99]
	v_add_f64 v[98:99], v[12:13], v[52:53]
	v_mul_f64 v[132:133], v[96:97], s[36:37]
	s_mov_b32 s51, 0xbfeca52d
	s_mov_b32 s50, s28
	;; [unrolled: 1-line block ×4, first 2 shown]
	v_add_f64 v[82:83], v[104:105], v[82:83]
	v_add_f64 v[84:85], v[106:107], v[84:85]
	v_mul_f64 v[138:139], v[96:97], s[50:51]
	v_mul_f64 v[104:105], v[96:97], s[46:47]
	v_fma_f64 v[106:107], v[98:99], s[44:45], -v[132:133]
	v_add_f64 v[90:91], v[94:95], v[90:91]
	v_add_f64 v[94:95], v[100:101], v[114:115]
	v_add_f64 v[100:101], v[50:51], -v[22:23]
	v_add_f64 v[86:87], v[108:109], v[86:87]
	v_mul_f64 v[140:141], v[96:97], s[10:11]
	v_add_f64 v[88:89], v[102:103], v[88:89]
	v_fma_f64 v[108:109], v[98:99], s[38:39], -v[138:139]
	v_fma_f64 v[116:117], v[98:99], s[34:35], v[104:105]
	v_add_f64 v[92:93], v[106:107], v[92:93]
	v_mul_f64 v[106:107], v[96:97], s[42:43]
	v_add_f64 v[102:103], v[20:21], v[48:49]
	v_mul_f64 v[144:145], v[100:101], s[4:5]
	s_mov_b32 s53, 0x3fefdd0d
	s_mov_b32 s52, s0
	v_fma_f64 v[114:115], v[98:99], s[20:21], -v[140:141]
	v_mul_f64 v[136:137], v[100:101], s[50:51]
	v_add_f64 v[82:83], v[108:109], v[82:83]
	v_add_f64 v[86:87], v[116:117], v[86:87]
	v_fma_f64 v[104:105], v[98:99], s[34:35], -v[104:105]
	v_fma_f64 v[108:109], v[98:99], s[48:49], v[106:107]
	v_fma_f64 v[116:117], v[102:103], s[6:7], -v[144:145]
	v_mul_f64 v[146:147], v[100:101], s[52:53]
	v_add_f64 v[84:85], v[114:115], v[84:85]
	v_fma_f64 v[106:107], v[98:99], s[48:49], -v[106:107]
	v_fma_f64 v[114:115], v[102:103], s[38:39], -v[136:137]
	v_mul_f64 v[118:119], v[100:101], s[40:41]
	v_add_f64 v[90:91], v[104:105], v[90:91]
	v_add_f64 v[94:95], v[108:109], v[94:95]
	v_add_f64 v[104:105], v[46:47], -v[26:27]
	v_add_f64 v[82:83], v[116:117], v[82:83]
	v_fma_f64 v[108:109], v[102:103], s[24:25], -v[146:147]
	v_mul_f64 v[116:117], v[100:101], s[22:23]
	v_add_f64 v[88:89], v[106:107], v[88:89]
	v_add_f64 v[92:93], v[114:115], v[92:93]
	v_fma_f64 v[114:115], v[102:103], s[44:45], v[118:119]
	v_add_f64 v[106:107], v[24:25], v[44:45]
	v_mul_f64 v[142:143], v[104:105], s[10:11]
	s_mov_b32 s57, 0xbfe58eea
	v_add_f64 v[84:85], v[108:109], v[84:85]
	v_fma_f64 v[108:109], v[102:103], s[34:35], v[116:117]
	s_mov_b32 s56, s42
	v_mul_f64 v[150:151], v[104:105], s[52:53]
	v_mul_f64 v[154:155], v[104:105], s[56:57]
	v_fma_f64 v[118:119], v[102:103], s[44:45], -v[118:119]
	v_add_f64 v[86:87], v[114:115], v[86:87]
	v_fma_f64 v[114:115], v[102:103], s[34:35], -v[116:117]
	v_fma_f64 v[116:117], v[106:107], s[20:21], -v[142:143]
	v_add_f64 v[94:95], v[108:109], v[94:95]
	v_add_f64 v[108:109], v[42:43], -v[30:31]
	v_fma_f64 v[148:149], v[106:107], s[24:25], -v[150:151]
	v_fma_f64 v[152:153], v[106:107], s[48:49], -v[154:155]
	v_add_f64 v[90:91], v[118:119], v[90:91]
	v_mul_f64 v[118:119], v[104:105], s[4:5]
	v_add_f64 v[88:89], v[114:115], v[88:89]
	v_add_f64 v[92:93], v[116:117], v[92:93]
	v_mul_f64 v[116:117], v[104:105], s[28:29]
	v_add_f64 v[114:115], v[28:29], v[40:41]
	v_mul_f64 v[158:159], v[108:109], s[4:5]
	v_add_f64 v[82:83], v[148:149], v[82:83]
	v_add_f64 v[84:85], v[152:153], v[84:85]
	v_fma_f64 v[152:153], v[106:107], s[6:7], v[118:119]
	v_mul_f64 v[148:149], v[108:109], s[46:47]
	v_fma_f64 v[118:119], v[106:107], s[6:7], -v[118:119]
	v_mul_f64 v[156:157], v[108:109], s[40:41]
	v_mul_f64 v[160:161], v[108:109], s[42:43]
	v_fma_f64 v[162:163], v[106:107], s[38:39], v[116:117]
	v_fma_f64 v[116:117], v[106:107], s[38:39], -v[116:117]
	v_fma_f64 v[166:167], v[114:115], s[6:7], -v[158:159]
	v_add_f64 v[86:87], v[152:153], v[86:87]
	v_fma_f64 v[152:153], v[114:115], s[34:35], -v[148:149]
	v_add_f64 v[90:91], v[118:119], v[90:91]
	v_fma_f64 v[118:119], v[114:115], s[44:45], -v[156:157]
	v_fma_f64 v[168:169], v[114:115], s[48:49], v[160:161]
	v_add_f64 v[94:95], v[162:163], v[94:95]
	v_mul_f64 v[162:163], v[108:109], s[18:19]
	v_add_f64 v[88:89], v[116:117], v[88:89]
	v_add_f64 v[116:117], v[38:39], -v[34:35]
	v_add_f64 v[166:167], v[166:167], v[84:85]
	v_fma_f64 v[84:85], v[114:115], s[48:49], -v[160:161]
	v_add_f64 v[92:93], v[152:153], v[92:93]
	v_add_f64 v[82:83], v[118:119], v[82:83]
	;; [unrolled: 1-line block ×3, first 2 shown]
	v_fma_f64 v[86:87], v[114:115], s[26:27], v[162:163]
	v_fma_f64 v[170:171], v[114:115], s[26:27], -v[162:163]
	v_add_f64 v[118:119], v[32:33], v[36:37]
	v_mul_f64 v[152:153], v[116:117], s[42:43]
	v_mul_f64 v[160:161], v[116:117], s[22:23]
	;; [unrolled: 1-line block ×4, first 2 shown]
	v_add_f64 v[90:91], v[84:85], v[90:91]
	v_mul_f64 v[84:85], v[116:117], s[52:53]
	v_add_f64 v[94:95], v[86:87], v[94:95]
	v_add_f64 v[170:171], v[170:171], v[88:89]
	v_fma_f64 v[86:87], v[118:119], s[48:49], -v[152:153]
	v_fma_f64 v[88:89], v[118:119], s[34:35], -v[160:161]
	;; [unrolled: 1-line block ×3, first 2 shown]
	v_fma_f64 v[176:177], v[118:119], s[26:27], v[172:173]
	v_fma_f64 v[172:173], v[118:119], s[26:27], -v[172:173]
	v_fma_f64 v[178:179], v[118:119], s[24:25], v[84:85]
	v_fma_f64 v[180:181], v[118:119], s[24:25], -v[84:85]
	v_cmp_gt_u32_e64 s[2:3], 63, v164
	v_add_f64 v[84:85], v[86:87], v[92:93]
	v_add_f64 v[86:87], v[88:89], v[82:83]
	;; [unrolled: 1-line block ×7, first 2 shown]
	s_and_saveexec_b64 s[54:55], s[2:3]
	s_cbranch_execz .LBB0_15
; %bb.14:
	v_mul_f64 v[168:169], v[70:71], s[34:35]
	v_mul_f64 v[170:171], v[70:71], s[26:27]
	;; [unrolled: 1-line block ×8, first 2 shown]
	v_add_f64 v[126:127], v[126:127], v[168:169]
	v_add_f64 v[120:121], v[120:121], v[170:171]
	;; [unrolled: 1-line block ×3, first 2 shown]
	v_mul_f64 v[184:185], v[98:99], s[20:21]
	v_add_f64 v[122:123], v[122:123], v[174:175]
	v_add_f64 v[134:135], v[134:135], v[182:183]
	;; [unrolled: 1-line block ×3, first 2 shown]
	v_mul_f64 v[170:171], v[98:99], s[38:39]
	v_add_f64 v[126:127], v[0:1], v[126:127]
	v_add_f64 v[120:121], v[0:1], v[120:121]
	v_mul_f64 v[174:175], v[102:103], s[24:25]
	v_add_f64 v[140:141], v[140:141], v[184:185]
	v_add_f64 v[110:111], v[110:111], v[172:173]
	v_mul_f64 v[178:179], v[78:79], s[26:27]
	v_add_f64 v[112:113], v[0:1], v[112:113]
	v_mul_f64 v[188:189], v[102:103], s[6:7]
	v_add_f64 v[124:125], v[124:125], v[126:127]
	v_add_f64 v[126:127], v[130:131], v[180:181]
	;; [unrolled: 1-line block ×3, first 2 shown]
	v_mul_f64 v[122:123], v[106:107], s[48:49]
	v_add_f64 v[146:147], v[146:147], v[174:175]
	v_mul_f64 v[168:169], v[98:99], s[44:45]
	v_add_f64 v[110:111], v[110:111], v[112:113]
	;; [unrolled: 2-line block ×3, first 2 shown]
	v_add_f64 v[134:135], v[138:139], v[170:171]
	v_add_f64 v[120:121], v[126:127], v[120:121]
	v_mul_f64 v[138:139], v[114:115], s[6:7]
	v_add_f64 v[128:129], v[128:129], v[178:179]
	v_add_f64 v[122:123], v[154:155], v[122:123]
	v_mul_f64 v[186:187], v[102:103], s[38:39]
	v_mul_f64 v[126:127], v[114:115], s[44:45]
	v_add_f64 v[112:113], v[140:141], v[124:125]
	v_add_f64 v[124:125], v[144:145], v[188:189]
	;; [unrolled: 1-line block ×7, first 2 shown]
	v_mul_f64 v[144:145], v[70:71], s[38:39]
	v_add_f64 v[112:113], v[146:147], v[112:113]
	v_mul_f64 v[140:141], v[118:119], s[34:35]
	v_add_f64 v[120:121], v[124:125], v[120:121]
	;; [unrolled: 2-line block ×3, first 2 shown]
	v_add_f64 v[110:111], v[132:133], v[110:111]
	v_mul_f64 v[176:177], v[106:107], s[20:21]
	v_mul_f64 v[130:131], v[114:115], s[34:35]
	v_add_f64 v[112:113], v[122:123], v[112:113]
	v_add_f64 v[122:123], v[156:157], v[126:127]
	v_add_f64 v[120:121], v[128:129], v[120:121]
	v_add_f64 v[124:125], v[162:163], v[124:125]
	v_mul_f64 v[126:127], v[74:75], s[34:35]
	v_fma_f64 v[128:129], v[68:69], s[28:29], v[144:145]
	v_add_f64 v[110:111], v[136:137], v[110:111]
	v_add_f64 v[136:137], v[160:161], v[140:141]
	;; [unrolled: 1-line block ×5, first 2 shown]
	v_mul_f64 v[122:123], v[78:79], s[6:7]
	v_fma_f64 v[138:139], v[72:73], s[46:47], v[126:127]
	v_add_f64 v[128:129], v[0:1], v[128:129]
	v_fma_f64 v[126:127], v[72:73], s[22:23], v[126:127]
	s_mov_b32 s59, 0x3fc7851a
	v_add_f64 v[112:113], v[124:125], v[112:113]
	v_fma_f64 v[124:125], v[68:69], s[50:51], v[144:145]
	v_add_f64 v[120:121], v[136:137], v[120:121]
	v_fma_f64 v[136:137], v[76:77], s[4:5], v[122:123]
	s_mov_b32 s58, s4
	v_add_f64 v[128:129], v[138:139], v[128:129]
	v_add_f64 v[138:139], v[64:65], v[0:1]
	;; [unrolled: 1-line block ×5, first 2 shown]
	v_mul_f64 v[132:133], v[98:99], s[26:27]
	v_fma_f64 v[122:123], v[76:77], s[58:59], v[122:123]
	v_mul_f64 v[142:143], v[70:71], s[48:49]
	v_add_f64 v[128:129], v[136:137], v[128:129]
	v_add_f64 v[136:137], v[60:61], v[138:139]
	v_mul_f64 v[138:139], v[106:107], s[44:45]
	v_add_f64 v[110:111], v[130:131], v[110:111]
	v_add_f64 v[124:125], v[126:127], v[124:125]
	v_mul_f64 v[130:131], v[102:103], s[48:49]
	v_fma_f64 v[140:141], v[96:97], s[18:19], v[132:133]
	v_fma_f64 v[132:133], v[96:97], s[30:31], v[132:133]
	;; [unrolled: 1-line block ×3, first 2 shown]
	v_add_f64 v[136:137], v[56:57], v[136:137]
	v_fma_f64 v[148:149], v[104:105], s[36:37], v[138:139]
	v_fma_f64 v[138:139], v[104:105], s[40:41], v[138:139]
	v_add_f64 v[122:123], v[122:123], v[124:125]
	v_fma_f64 v[144:145], v[100:101], s[56:57], v[130:131]
	v_add_f64 v[128:129], v[140:141], v[128:129]
	v_mul_f64 v[140:141], v[74:75], s[24:25]
	v_fma_f64 v[130:131], v[100:101], s[42:43], v[130:131]
	v_add_f64 v[136:137], v[52:53], v[136:137]
	v_mul_f64 v[124:125], v[114:115], s[24:25]
	v_add_f64 v[146:147], v[0:1], v[146:147]
	v_add_f64 v[122:123], v[132:133], v[122:123]
	v_mul_f64 v[132:133], v[78:79], s[34:35]
	v_add_f64 v[128:129], v[144:145], v[128:129]
	v_fma_f64 v[144:145], v[72:73], s[52:53], v[140:141]
	v_mul_f64 v[70:71], v[70:71], s[44:45]
	v_add_f64 v[136:137], v[48:49], v[136:137]
	v_fma_f64 v[150:151], v[108:109], s[52:53], v[124:125]
	v_fma_f64 v[124:125], v[108:109], s[0:1], v[124:125]
	v_add_f64 v[122:123], v[130:131], v[122:123]
	v_mul_f64 v[130:131], v[98:99], s[6:7]
	v_add_f64 v[128:129], v[148:149], v[128:129]
	v_fma_f64 v[148:149], v[76:77], s[46:47], v[132:133]
	v_add_f64 v[144:145], v[144:145], v[146:147]
	v_add_f64 v[136:137], v[44:45], v[136:137]
	v_mul_f64 v[74:75], v[74:75], s[48:49]
	v_fma_f64 v[158:159], v[68:69], s[40:41], v[70:71]
	v_add_f64 v[122:123], v[138:139], v[122:123]
	v_mul_f64 v[138:139], v[102:103], s[20:21]
	v_add_f64 v[128:129], v[150:151], v[128:129]
	v_fma_f64 v[150:151], v[96:97], s[58:59], v[130:131]
	v_add_f64 v[144:145], v[148:149], v[144:145]
	v_fma_f64 v[142:143], v[68:69], s[56:57], v[142:143]
	v_mul_f64 v[78:79], v[78:79], s[38:39]
	v_fma_f64 v[68:69], v[68:69], s[36:37], v[70:71]
	v_add_f64 v[122:123], v[124:125], v[122:123]
	v_add_f64 v[124:125], v[40:41], v[136:137]
	v_fma_f64 v[136:137], v[100:101], s[10:11], v[138:139]
	v_fma_f64 v[70:71], v[72:73], s[56:57], v[74:75]
	v_add_f64 v[144:145], v[150:151], v[144:145]
	v_fma_f64 v[140:141], v[72:73], s[0:1], v[140:141]
	v_add_f64 v[142:143], v[0:1], v[142:143]
	v_mul_f64 v[98:99], v[98:99], s[24:25]
	v_fma_f64 v[72:73], v[72:73], s[42:43], v[74:75]
	v_add_f64 v[124:125], v[36:37], v[124:125]
	v_fma_f64 v[132:133], v[76:77], s[22:23], v[132:133]
	v_mul_f64 v[134:135], v[118:119], s[48:49]
	v_add_f64 v[136:137], v[136:137], v[144:145]
	v_add_f64 v[144:145], v[0:1], v[158:159]
	;; [unrolled: 1-line block ×3, first 2 shown]
	v_fma_f64 v[68:69], v[76:77], s[50:51], v[78:79]
	v_mul_f64 v[102:103], v[102:103], s[26:27]
	v_add_f64 v[124:125], v[32:33], v[124:125]
	v_fma_f64 v[76:77], v[76:77], s[28:29], v[78:79]
	v_fma_f64 v[130:131], v[96:97], s[4:5], v[130:131]
	v_add_f64 v[134:135], v[152:153], v[134:135]
	v_add_f64 v[70:71], v[70:71], v[144:145]
	;; [unrolled: 1-line block ×3, first 2 shown]
	v_fma_f64 v[72:73], v[96:97], s[0:1], v[98:99]
	v_mul_f64 v[152:153], v[106:107], s[26:27]
	v_add_f64 v[74:75], v[28:29], v[124:125]
	v_add_f64 v[124:125], v[140:141], v[142:143]
	v_mul_f64 v[106:107], v[106:107], s[34:35]
	v_fma_f64 v[96:97], v[96:97], s[52:53], v[98:99]
	v_add_f64 v[68:69], v[68:69], v[70:71]
	v_add_f64 v[0:1], v[76:77], v[0:1]
	v_fma_f64 v[76:77], v[100:101], s[18:19], v[102:103]
	v_fma_f64 v[78:79], v[100:101], s[16:17], v[138:139]
	v_add_f64 v[70:71], v[24:25], v[74:75]
	v_add_f64 v[74:75], v[132:133], v[124:125]
	v_mul_f64 v[98:99], v[114:115], s[20:21]
	v_fma_f64 v[100:101], v[100:101], s[30:31], v[102:103]
	v_add_f64 v[68:69], v[72:73], v[68:69]
	v_add_f64 v[0:1], v[96:97], v[0:1]
	v_fma_f64 v[96:97], v[104:105], s[22:23], v[106:107]
	v_mul_f64 v[148:149], v[114:115], s[38:39]
	v_add_f64 v[70:71], v[20:21], v[70:71]
	v_add_f64 v[72:73], v[130:131], v[74:75]
	v_fma_f64 v[74:75], v[104:105], s[30:31], v[152:153]
	v_fma_f64 v[156:157], v[104:105], s[18:19], v[152:153]
	v_add_f64 v[68:69], v[76:77], v[68:69]
	v_fma_f64 v[102:103], v[104:105], s[46:47], v[106:107]
	v_add_f64 v[0:1], v[100:101], v[0:1]
	;; [unrolled: 2-line block ×3, first 2 shown]
	v_add_f64 v[72:73], v[78:79], v[72:73]
	v_mul_f64 v[78:79], v[118:119], s[6:7]
	v_mul_f64 v[126:127], v[118:119], s[20:21]
	v_add_f64 v[68:69], v[96:97], v[68:69]
	v_mul_f64 v[150:151], v[118:119], s[44:45]
	v_fma_f64 v[76:77], v[108:109], s[28:29], v[148:149]
	v_fma_f64 v[154:155], v[108:109], s[50:51], v[148:149]
	v_add_f64 v[70:71], v[4:5], v[70:71]
	v_add_f64 v[72:73], v[74:75], v[72:73]
	;; [unrolled: 1-line block ×3, first 2 shown]
	v_fma_f64 v[98:99], v[108:109], s[16:17], v[98:99]
	v_add_f64 v[0:1], v[102:103], v[0:1]
	v_fma_f64 v[102:103], v[116:117], s[4:5], v[78:79]
	v_add_f64 v[68:69], v[100:101], v[68:69]
	;; [unrolled: 2-line block ×3, first 2 shown]
	v_fma_f64 v[126:127], v[116:117], s[10:11], v[126:127]
	v_fma_f64 v[96:97], v[116:117], s[36:37], v[150:151]
	v_add_f64 v[72:73], v[76:77], v[72:73]
	v_fma_f64 v[76:77], v[116:117], s[40:41], v[150:151]
	v_add_f64 v[74:75], v[154:155], v[74:75]
	;; [unrolled: 2-line block ×3, first 2 shown]
	v_add_f64 v[68:69], v[102:103], v[68:69]
	v_add_f64 v[70:71], v[8:9], v[70:71]
	;; [unrolled: 1-line block ×5, first 2 shown]
	s_movk_i32 s0, 0x88
	v_add_f64 v[100:101], v[146:147], v[128:129]
	v_add_f64 v[74:75], v[76:77], v[74:75]
	v_mad_u32_u24 v76, v164, s0, 0
	v_add_f64 v[0:1], v[78:79], v[0:1]
	ds_write2_b64 v76, v[70:71], v[68:69] offset1:1
	ds_write2_b64 v76, v[72:73], v[98:99] offset0:2 offset1:3
	ds_write2_b64 v76, v[96:97], v[120:121] offset0:4 offset1:5
	;; [unrolled: 1-line block ×7, first 2 shown]
	ds_write_b64 v76, v[0:1] offset:128
.LBB0_15:
	s_or_b64 exec, exec, s[54:55]
	v_lshl_add_u32 v158, v164, 3, 0
	v_add_u32_e32 v0, 0x800, v158
	s_waitcnt lgkmcnt(0)
	s_barrier
	ds_read2_b64 v[76:79], v0 offset0:50 offset1:203
	v_add_u32_e32 v0, 0x1000, v158
	ds_read2_b64 v[68:71], v158 offset1:153
	ds_read2_b64 v[72:75], v0 offset0:100 offset1:253
	ds_read_b64 v[96:97], v158 offset:7344
	v_cmp_gt_u32_e64 s[0:1], 34, v164
	s_and_saveexec_b64 s[4:5], s[0:1]
	s_cbranch_execz .LBB0_17
; %bb.16:
	v_add_u32_e32 v1, 0x1400, v158
	ds_read2_b64 v[88:91], v1 offset0:91 offset1:244
	v_add_u32_e32 v1, 0xc00, v158
	v_add_u32_e32 v0, 0x200, v158
	ds_read2_b64 v[92:95], v1 offset0:41 offset1:194
	ds_read2_b64 v[98:101], v0 offset0:55 offset1:208
	ds_read_b64 v[84:85], v158 offset:8296
	s_waitcnt lgkmcnt(3)
	v_mov_b32_e32 v86, v90
	v_mov_b32_e32 v87, v91
	s_waitcnt lgkmcnt(2)
	v_mov_b32_e32 v90, v94
	v_mov_b32_e32 v91, v95
	;; [unrolled: 3-line block ×3, first 2 shown]
	v_mov_b32_e32 v95, v101
	v_mov_b32_e32 v83, v99
.LBB0_17:
	s_or_b64 exec, exec, s[4:5]
	v_add_f64 v[104:105], v[64:65], -v[8:9]
	s_mov_b32 s10, 0xeb564b22
	s_mov_b32 s16, 0x4363dd80
	;; [unrolled: 1-line block ×4, first 2 shown]
	v_add_f64 v[0:1], v[10:11], v[66:67]
	v_add_f64 v[136:137], v[60:61], -v[16:17]
	s_mov_b32 s4, 0x3259b75e
	v_mul_f64 v[8:9], v[104:105], s[10:11]
	v_mul_f64 v[100:101], v[104:105], s[16:17]
	s_mov_b32 s42, 0x923c349f
	s_mov_b32 s6, 0x910ea3b9
	s_mov_b32 s30, 0x7c9e640b
	s_mov_b32 s5, 0x3fb79ee6
	s_mov_b32 s43, 0xbfeec746
	s_mov_b32 s7, 0xbfeb34fa
	s_mov_b32 s31, 0x3feca52d
	v_mul_f64 v[64:65], v[104:105], s[42:43]
	v_fma_f64 v[102:103], v[0:1], s[4:5], v[8:9]
	v_fma_f64 v[16:17], v[0:1], s[6:7], v[100:101]
	v_add_f64 v[60:61], v[18:19], v[62:63]
	v_mul_f64 v[118:119], v[136:137], s[30:31]
	s_mov_b32 s24, 0x6c9a05f6
	s_mov_b32 s22, 0xc61f0d01
	;; [unrolled: 1-line block ×10, first 2 shown]
	v_mul_f64 v[98:99], v[104:105], s[24:25]
	v_fma_f64 v[106:107], v[0:1], s[22:23], v[64:65]
	v_fma_f64 v[110:111], v[0:1], s[6:7], -v[100:101]
	v_add_f64 v[112:113], v[2:3], v[102:103]
	v_mul_f64 v[116:117], v[104:105], s[20:21]
	v_mul_f64 v[100:101], v[136:137], s[20:21]
	;; [unrolled: 1-line block ×3, first 2 shown]
	v_fma_f64 v[128:129], v[60:61], s[34:35], -v[118:119]
	v_add_f64 v[16:17], v[2:3], v[16:17]
	v_fma_f64 v[118:119], v[60:61], s[34:35], v[118:119]
	s_mov_b32 s28, 0x6ed5f1bb
	s_mov_b32 s18, 0x7faef3
	;; [unrolled: 1-line block ×6, first 2 shown]
	v_fma_f64 v[108:109], v[0:1], s[28:29], v[98:99]
	v_add_f64 v[114:115], v[2:3], v[106:107]
	v_mul_f64 v[106:107], v[136:137], s[38:39]
	v_fma_f64 v[120:121], v[0:1], s[18:19], -v[116:117]
	v_fma_f64 v[122:123], v[60:61], s[18:19], v[100:101]
	v_fma_f64 v[124:125], v[60:61], s[6:7], v[102:103]
	v_add_f64 v[148:149], v[56:57], -v[4:5]
	v_add_f64 v[16:17], v[118:119], v[16:17]
	v_mul_f64 v[118:119], v[136:137], s[36:37]
	s_mov_b32 s26, 0x370991
	s_mov_b32 s46, 0x2a9d6da3
	;; [unrolled: 1-line block ×6, first 2 shown]
	v_add_f64 v[108:109], v[2:3], v[108:109]
	v_add_f64 v[110:111], v[2:3], v[110:111]
	v_fma_f64 v[116:117], v[0:1], s[18:19], v[116:117]
	v_fma_f64 v[126:127], v[60:61], s[22:23], v[106:107]
	v_add_f64 v[120:121], v[2:3], v[120:121]
	v_add_f64 v[112:113], v[122:123], v[112:113]
	;; [unrolled: 1-line block ×4, first 2 shown]
	v_mul_f64 v[56:57], v[148:149], s[38:39]
	v_mul_f64 v[130:131], v[148:149], s[46:47]
	;; [unrolled: 1-line block ×4, first 2 shown]
	v_fma_f64 v[124:125], v[60:61], s[26:27], -v[118:119]
	v_add_f64 v[156:157], v[52:53], -v[12:13]
	v_add_f64 v[116:117], v[2:3], v[116:117]
	v_add_f64 v[108:109], v[126:127], v[108:109]
	;; [unrolled: 1-line block ×3, first 2 shown]
	v_fma_f64 v[118:119], v[60:61], s[26:27], v[118:119]
	v_fma_f64 v[126:127], v[4:5], s[22:23], v[56:57]
	;; [unrolled: 1-line block ×4, first 2 shown]
	v_fma_f64 v[134:135], v[4:5], s[4:5], -v[122:123]
	v_add_f64 v[120:121], v[124:125], v[120:121]
	v_mul_f64 v[124:125], v[148:149], s[16:17]
	v_add_f64 v[154:155], v[14:15], v[54:55]
	v_mul_f64 v[152:153], v[156:157], s[36:37]
	s_mov_b32 s53, 0xbfeca52d
	s_mov_b32 s52, s30
	;; [unrolled: 1-line block ×4, first 2 shown]
	v_add_f64 v[116:117], v[118:119], v[116:117]
	v_add_f64 v[112:113], v[126:127], v[112:113]
	;; [unrolled: 1-line block ×5, first 2 shown]
	v_fma_f64 v[110:111], v[4:5], s[4:5], v[122:123]
	v_fma_f64 v[122:123], v[4:5], s[6:7], -v[124:125]
	v_fma_f64 v[124:125], v[4:5], s[6:7], v[124:125]
	v_mul_f64 v[52:53], v[156:157], s[52:53]
	v_mul_f64 v[108:109], v[156:157], s[16:17]
	;; [unrolled: 1-line block ×3, first 2 shown]
	v_fma_f64 v[126:127], v[154:155], s[26:27], v[152:153]
	v_add_f64 v[142:143], v[48:49], -v[20:21]
	v_add_f64 v[16:17], v[110:111], v[16:17]
	v_add_f64 v[122:123], v[122:123], v[120:121]
	;; [unrolled: 1-line block ×3, first 2 shown]
	v_fma_f64 v[116:117], v[154:155], s[34:35], v[52:53]
	v_fma_f64 v[120:121], v[154:155], s[6:7], v[108:109]
	v_fma_f64 v[124:125], v[154:155], s[28:29], -v[128:129]
	v_add_f64 v[112:113], v[126:127], v[112:113]
	v_mul_f64 v[132:133], v[156:157], s[46:47]
	v_add_f64 v[126:127], v[22:23], v[50:51]
	v_mul_f64 v[110:111], v[142:143], s[52:53]
	v_mul_f64 v[48:49], v[142:143], s[20:21]
	s_mov_b32 s51, 0x3fefdd0d
	s_mov_b32 s50, s10
	v_add_f64 v[12:13], v[116:117], v[12:13]
	v_add_f64 v[116:117], v[120:121], v[114:115]
	;; [unrolled: 1-line block ×3, first 2 shown]
	v_fma_f64 v[114:115], v[154:155], s[28:29], v[128:129]
	v_fma_f64 v[124:125], v[154:155], s[48:49], -v[132:133]
	v_fma_f64 v[128:129], v[154:155], s[48:49], v[132:133]
	v_fma_f64 v[132:133], v[126:127], s[34:35], v[110:111]
	;; [unrolled: 1-line block ×3, first 2 shown]
	v_mul_f64 v[120:121], v[142:143], s[50:51]
	v_mul_f64 v[146:147], v[142:143], s[44:45]
	v_add_f64 v[144:145], v[44:45], -v[24:25]
	s_mov_b32 s55, 0xbfe58eea
	s_mov_b32 s54, s46
	v_add_f64 v[16:17], v[114:115], v[16:17]
	v_add_f64 v[122:123], v[124:125], v[122:123]
	;; [unrolled: 1-line block ×5, first 2 shown]
	v_fma_f64 v[124:125], v[126:127], s[4:5], v[120:121]
	v_fma_f64 v[128:129], v[126:127], s[26:27], -v[146:147]
	v_mul_f64 v[132:133], v[142:143], s[24:25]
	v_add_f64 v[138:139], v[26:27], v[46:47]
	v_mul_f64 v[44:45], v[144:145], s[50:51]
	v_mul_f64 v[114:115], v[144:145], s[54:55]
	v_fma_f64 v[134:135], v[126:127], s[26:27], v[146:147]
	v_mul_f64 v[112:113], v[144:145], s[16:17]
	v_add_f64 v[116:117], v[124:125], v[116:117]
	v_add_f64 v[128:129], v[128:129], v[118:119]
	v_fma_f64 v[124:125], v[126:127], s[28:29], -v[132:133]
	v_fma_f64 v[118:119], v[126:127], s[28:29], v[132:133]
	v_fma_f64 v[150:151], v[138:139], s[4:5], v[44:45]
	;; [unrolled: 1-line block ×3, first 2 shown]
	v_add_f64 v[16:17], v[134:135], v[16:17]
	v_mul_f64 v[134:135], v[144:145], s[20:21]
	v_add_f64 v[146:147], v[40:41], -v[28:29]
	v_fma_f64 v[132:133], v[138:139], s[6:7], v[112:113]
	v_add_f64 v[124:125], v[124:125], v[122:123]
	v_add_f64 v[20:21], v[118:119], v[20:21]
	;; [unrolled: 1-line block ×4, first 2 shown]
	v_mul_f64 v[40:41], v[144:145], s[30:31]
	v_fma_f64 v[150:151], v[138:139], s[18:19], -v[134:135]
	v_add_f64 v[116:117], v[30:31], v[42:43]
	v_mul_f64 v[118:119], v[146:147], s[56:57]
	v_fma_f64 v[134:135], v[138:139], s[18:19], v[134:135]
	v_mul_f64 v[122:123], v[146:147], s[44:45]
	v_add_f64 v[24:25], v[132:133], v[24:25]
	v_mul_f64 v[132:133], v[146:147], s[20:21]
	v_mul_f64 v[159:160], v[146:147], s[46:47]
	v_fma_f64 v[161:162], v[138:139], s[34:35], -v[40:41]
	v_add_f64 v[128:129], v[150:151], v[128:129]
	v_fma_f64 v[150:151], v[116:117], s[28:29], v[118:119]
	v_add_f64 v[16:17], v[134:135], v[16:17]
	v_fma_f64 v[134:135], v[116:117], s[26:27], v[122:123]
	v_fma_f64 v[40:41], v[138:139], s[34:35], v[40:41]
	;; [unrolled: 1-line block ×3, first 2 shown]
	v_fma_f64 v[168:169], v[116:117], s[48:49], -v[159:160]
	v_add_f64 v[161:162], v[161:162], v[124:125]
	v_mul_f64 v[124:125], v[146:147], s[42:43]
	v_add_f64 v[24:25], v[150:151], v[24:25]
	v_add_f64 v[150:151], v[36:37], -v[32:33]
	v_add_f64 v[32:33], v[134:135], v[12:13]
	v_fma_f64 v[12:13], v[116:117], s[48:49], v[159:160]
	v_add_f64 v[20:21], v[40:41], v[20:21]
	v_add_f64 v[28:29], v[166:167], v[28:29]
	;; [unrolled: 1-line block ×3, first 2 shown]
	v_fma_f64 v[159:160], v[116:117], s[22:23], -v[124:125]
	v_fma_f64 v[166:167], v[116:117], s[22:23], v[124:125]
	v_add_f64 v[40:41], v[34:35], v[38:39]
	v_mul_f64 v[134:135], v[150:151], s[46:47]
	v_mul_f64 v[128:129], v[150:151], s[24:25]
	v_mul_f64 v[124:125], v[150:151], s[30:31]
	v_mul_f64 v[168:169], v[150:151], s[42:43]
	v_add_f64 v[170:171], v[12:13], v[16:17]
	v_mul_f64 v[12:13], v[150:151], s[50:51]
	v_add_f64 v[159:160], v[159:160], v[161:162]
	v_add_f64 v[161:162], v[166:167], v[20:21]
	v_fma_f64 v[16:17], v[40:41], s[48:49], v[134:135]
	v_fma_f64 v[20:21], v[40:41], s[28:29], v[128:129]
	;; [unrolled: 1-line block ×3, first 2 shown]
	v_fma_f64 v[172:173], v[40:41], s[22:23], -v[168:169]
	v_fma_f64 v[168:169], v[40:41], s[22:23], v[168:169]
	v_fma_f64 v[174:175], v[40:41], s[4:5], -v[12:13]
	v_fma_f64 v[176:177], v[40:41], s[4:5], v[12:13]
	s_waitcnt lgkmcnt(0)
	v_add_f64 v[12:13], v[16:17], v[24:25]
	v_add_f64 v[20:21], v[20:21], v[32:33]
	v_add_f64 v[24:25], v[166:167], v[28:29]
	v_add_f64 v[16:17], v[172:173], v[36:37]
	v_add_f64 v[28:29], v[168:169], v[170:171]
	v_add_f64 v[36:37], v[174:175], v[159:160]
	v_add_f64 v[32:33], v[176:177], v[161:162]
	s_barrier
	s_and_saveexec_b64 s[50:51], s[2:3]
	s_cbranch_execz .LBB0_19
; %bb.18:
	v_add_f64 v[66:67], v[66:67], v[2:3]
	v_mul_f64 v[204:205], v[104:105], s[44:45]
	v_mul_f64 v[159:160], v[0:1], s[4:5]
	;; [unrolled: 1-line block ×7, first 2 shown]
	v_add_f64 v[62:63], v[62:63], v[66:67]
	v_mul_f64 v[172:173], v[60:61], s[22:23]
	v_mul_f64 v[66:67], v[4:5], s[48:49]
	;; [unrolled: 1-line block ×5, first 2 shown]
	v_fma_f64 v[218:219], v[0:1], s[26:27], -v[204:205]
	v_fma_f64 v[204:205], v[0:1], s[26:27], v[204:205]
	v_add_f64 v[58:59], v[58:59], v[62:63]
	v_mul_f64 v[168:169], v[60:61], s[18:19]
	v_mul_f64 v[174:175], v[4:5], s[22:23]
	v_fma_f64 v[220:221], v[0:1], s[48:49], -v[206:207]
	v_add_f64 v[8:9], v[159:160], -v[8:9]
	s_mov_b32 s3, 0x3fc7851a
	s_mov_b32 s2, s20
	v_mul_f64 v[178:179], v[154:155], s[26:27]
	v_add_f64 v[54:55], v[54:55], v[58:59]
	v_mul_f64 v[180:181], v[154:155], s[34:35]
	v_mul_f64 v[182:183], v[154:155], s[6:7]
	;; [unrolled: 1-line block ×5, first 2 shown]
	v_add_f64 v[64:65], v[161:162], -v[64:65]
	v_add_f64 v[98:99], v[166:167], -v[98:99]
	v_add_f64 v[50:51], v[50:51], v[54:55]
	v_mul_f64 v[54:55], v[136:137], s[10:11]
	v_mul_f64 v[136:137], v[136:137], s[24:25]
	v_add_f64 v[102:103], v[170:171], -v[102:103]
	v_add_f64 v[66:67], v[66:67], -v[130:131]
	v_fma_f64 v[130:131], v[154:155], s[4:5], -v[214:215]
	v_add_f64 v[100:101], v[168:169], -v[100:101]
	v_add_f64 v[56:57], v[174:175], -v[56:57]
	v_add_f64 v[46:47], v[46:47], v[50:51]
	v_mul_f64 v[50:51], v[156:157], s[20:21]
	v_mul_f64 v[156:157], v[156:157], s[38:39]
	v_fma_f64 v[159:160], v[60:61], s[4:5], -v[54:55]
	v_fma_f64 v[54:55], v[60:61], s[4:5], v[54:55]
	v_fma_f64 v[161:162], v[60:61], s[28:29], -v[136:137]
	v_add_f64 v[174:175], v[2:3], v[220:221]
	v_add_f64 v[8:9], v[2:3], v[8:9]
	;; [unrolled: 1-line block ×3, first 2 shown]
	v_fma_f64 v[46:47], v[0:1], s[48:49], v[206:207]
	v_fma_f64 v[206:207], v[0:1], s[34:35], -v[104:105]
	v_fma_f64 v[0:1], v[0:1], s[34:35], v[104:105]
	v_fma_f64 v[170:171], v[154:155], s[18:19], -v[50:51]
	;; [unrolled: 2-line block ×3, first 2 shown]
	v_fma_f64 v[166:167], v[4:5], s[28:29], -v[212:213]
	v_add_f64 v[38:39], v[38:39], v[42:43]
	v_fma_f64 v[42:43], v[60:61], s[48:49], v[208:209]
	v_fma_f64 v[60:61], v[60:61], s[28:29], v[136:137]
	v_add_f64 v[0:1], v[2:3], v[0:1]
	v_fma_f64 v[136:137], v[4:5], s[34:35], v[210:211]
	v_fma_f64 v[168:169], v[4:5], s[28:29], v[212:213]
	v_add_f64 v[46:47], v[2:3], v[46:47]
	v_add_f64 v[64:65], v[2:3], v[64:65]
	;; [unrolled: 1-line block ×3, first 2 shown]
	v_add_f64 v[38:39], v[172:173], -v[106:107]
	v_fma_f64 v[172:173], v[154:155], s[22:23], -v[156:157]
	v_fma_f64 v[106:107], v[4:5], s[34:35], -v[210:211]
	v_add_f64 v[0:1], v[60:61], v[0:1]
	v_add_f64 v[8:9], v[100:101], v[8:9]
	v_add_f64 v[46:47], v[54:55], v[46:47]
	v_add_f64 v[54:55], v[102:103], v[64:65]
	v_add_f64 v[30:31], v[30:31], v[34:35]
	v_add_f64 v[34:35], v[176:177], -v[140:141]
	v_fma_f64 v[140:141], v[154:155], s[4:5], v[214:215]
	v_fma_f64 v[154:155], v[154:155], s[22:23], v[156:157]
	v_add_f64 v[156:157], v[2:3], v[204:205]
	v_mul_f64 v[216:217], v[142:143], s[42:43]
	v_mul_f64 v[184:185], v[126:127], s[34:35]
	;; [unrolled: 1-line block ×3, first 2 shown]
	v_add_f64 v[26:27], v[26:27], v[30:31]
	v_add_f64 v[30:31], v[178:179], -v[152:153]
	v_fma_f64 v[152:153], v[4:5], s[18:19], -v[148:149]
	v_fma_f64 v[4:5], v[4:5], s[18:19], v[148:149]
	v_add_f64 v[148:149], v[2:3], v[218:219]
	v_add_f64 v[42:43], v[42:43], v[156:157]
	v_mul_f64 v[62:63], v[126:127], s[4:5]
	v_mul_f64 v[188:189], v[138:139], s[6:7]
	v_add_f64 v[22:23], v[22:23], v[26:27]
	v_add_f64 v[26:27], v[2:3], v[206:207]
	;; [unrolled: 1-line block ×7, first 2 shown]
	v_mul_f64 v[190:191], v[138:139], s[4:5]
	v_add_f64 v[14:15], v[14:15], v[22:23]
	v_add_f64 v[22:23], v[159:160], v[174:175]
	;; [unrolled: 1-line block ×6, first 2 shown]
	v_mul_f64 v[46:47], v[142:143], s[46:47]
	v_add_f64 v[4:5], v[30:31], v[4:5]
	v_add_f64 v[6:7], v[6:7], v[14:15]
	;; [unrolled: 1-line block ×7, first 2 shown]
	v_add_f64 v[42:43], v[182:183], -v[108:109]
	v_fma_f64 v[50:51], v[126:127], s[22:23], -v[216:217]
	v_add_f64 v[6:7], v[18:19], v[6:7]
	v_add_f64 v[18:19], v[140:141], v[38:39]
	v_add_f64 v[38:39], v[180:181], -v[52:53]
	v_add_f64 v[22:23], v[170:171], v[22:23]
	v_add_f64 v[26:27], v[172:173], v[26:27]
	;; [unrolled: 1-line block ×3, first 2 shown]
	v_fma_f64 v[52:53], v[126:127], s[22:23], v[216:217]
	v_add_f64 v[0:1], v[154:155], v[0:1]
	v_add_f64 v[6:7], v[10:11], v[6:7]
	v_mul_f64 v[10:11], v[142:143], s[40:41]
	v_add_f64 v[8:9], v[38:39], v[8:9]
	v_fma_f64 v[38:39], v[126:127], s[48:49], -v[46:47]
	v_add_f64 v[2:3], v[42:43], v[2:3]
	v_fma_f64 v[42:43], v[126:127], s[48:49], v[46:47]
	v_add_f64 v[14:15], v[50:51], v[14:15]
	v_add_f64 v[18:19], v[52:53], v[18:19]
	v_add_f64 v[46:47], v[186:187], -v[48:49]
	v_fma_f64 v[30:31], v[126:127], s[6:7], -v[10:11]
	v_fma_f64 v[10:11], v[126:127], s[6:7], v[10:11]
	v_add_f64 v[26:27], v[38:39], v[26:27]
	v_mul_f64 v[38:39], v[144:145], s[38:39]
	v_mul_f64 v[50:51], v[144:145], s[44:45]
	v_add_f64 v[0:1], v[42:43], v[0:1]
	v_add_f64 v[42:43], v[62:63], -v[120:121]
	v_add_f64 v[8:9], v[46:47], v[8:9]
	v_add_f64 v[22:23], v[30:31], v[22:23]
	v_mul_f64 v[30:31], v[144:145], s[24:25]
	v_add_f64 v[10:11], v[10:11], v[34:35]
	v_add_f64 v[34:35], v[184:185], -v[110:111]
	v_fma_f64 v[46:47], v[138:139], s[26:27], v[50:51]
	v_mul_f64 v[192:193], v[138:139], s[48:49]
	v_add_f64 v[2:3], v[42:43], v[2:3]
	v_fma_f64 v[42:43], v[138:139], s[26:27], -v[50:51]
	v_mul_f64 v[194:195], v[116:117], s[28:29]
	v_fma_f64 v[48:49], v[138:139], s[28:29], -v[30:31]
	v_fma_f64 v[30:31], v[138:139], s[28:29], v[30:31]
	v_add_f64 v[4:5], v[34:35], v[4:5]
	v_fma_f64 v[34:35], v[138:139], s[22:23], -v[38:39]
	v_fma_f64 v[38:39], v[138:139], s[22:23], v[38:39]
	v_add_f64 v[0:1], v[46:47], v[0:1]
	v_mul_f64 v[196:197], v[116:117], s[26:27]
	v_add_f64 v[26:27], v[42:43], v[26:27]
	v_add_f64 v[14:15], v[48:49], v[14:15]
	;; [unrolled: 1-line block ×3, first 2 shown]
	v_mul_f64 v[30:31], v[146:147], s[16:17]
	v_add_f64 v[22:23], v[34:35], v[22:23]
	v_add_f64 v[10:11], v[38:39], v[10:11]
	v_add_f64 v[34:35], v[188:189], -v[112:113]
	v_mul_f64 v[38:39], v[146:147], s[30:31]
	v_mul_f64 v[48:49], v[146:147], s[10:11]
	v_add_f64 v[42:43], v[190:191], -v[44:45]
	v_add_f64 v[44:45], v[192:193], -v[114:115]
	v_fma_f64 v[46:47], v[116:117], s[6:7], -v[30:31]
	v_fma_f64 v[30:31], v[116:117], s[6:7], v[30:31]
	v_mul_f64 v[198:199], v[116:117], s[18:19]
	v_add_f64 v[4:5], v[34:35], v[4:5]
	v_fma_f64 v[34:35], v[116:117], s[34:35], -v[38:39]
	v_fma_f64 v[38:39], v[116:117], s[34:35], v[38:39]
	v_mul_f64 v[50:51], v[150:151], s[36:37]
	v_mul_f64 v[52:53], v[150:151], s[16:17]
	;; [unrolled: 1-line block ×3, first 2 shown]
	v_add_f64 v[18:19], v[30:31], v[18:19]
	v_mul_f64 v[30:31], v[150:151], s[20:21]
	v_mul_f64 v[200:201], v[40:41], s[28:29]
	v_add_f64 v[22:23], v[34:35], v[22:23]
	v_add_f64 v[10:11], v[38:39], v[10:11]
	v_fma_f64 v[34:35], v[116:117], s[4:5], -v[48:49]
	v_fma_f64 v[38:39], v[116:117], s[4:5], v[48:49]
	v_add_f64 v[8:9], v[42:43], v[8:9]
	v_add_f64 v[2:3], v[44:45], v[2:3]
	v_add_f64 v[42:43], v[194:195], -v[118:119]
	v_add_f64 v[44:45], v[196:197], -v[122:123]
	v_mul_f64 v[202:203], v[40:41], s[34:35]
	v_add_f64 v[14:15], v[46:47], v[14:15]
	v_add_f64 v[46:47], v[198:199], -v[132:133]
	v_fma_f64 v[48:49], v[40:41], s[18:19], -v[30:31]
	v_add_f64 v[26:27], v[34:35], v[26:27]
	v_add_f64 v[0:1], v[38:39], v[0:1]
	v_fma_f64 v[34:35], v[40:41], s[26:27], -v[50:51]
	v_fma_f64 v[38:39], v[40:41], s[6:7], -v[52:53]
	v_add_f64 v[4:5], v[42:43], v[4:5]
	v_add_f64 v[8:9], v[44:45], v[8:9]
	v_add_f64 v[42:43], v[58:59], -v[134:135]
	v_add_f64 v[44:45], v[200:201], -v[128:129]
	v_add_f64 v[2:3], v[46:47], v[2:3]
	v_add_f64 v[46:47], v[202:203], -v[124:125]
	v_add_f64 v[14:15], v[48:49], v[14:15]
	v_fma_f64 v[30:31], v[40:41], s[18:19], v[30:31]
	v_fma_f64 v[48:49], v[40:41], s[26:27], v[50:51]
	;; [unrolled: 1-line block ×3, first 2 shown]
	v_add_f64 v[22:23], v[34:35], v[22:23]
	v_add_f64 v[26:27], v[38:39], v[26:27]
	;; [unrolled: 1-line block ×8, first 2 shown]
	v_lshl_add_u32 v30, v164, 7, v158
	ds_write2_b64 v30, v[6:7], v[14:15] offset1:1
	ds_write2_b64 v30, v[22:23], v[26:27] offset0:2 offset1:3
	ds_write2_b64 v30, v[4:5], v[8:9] offset0:4 offset1:5
	;; [unrolled: 1-line block ×7, first 2 shown]
	ds_write_b64 v30, v[18:19] offset:128
.LBB0_19:
	s_or_b64 exec, exec, s[50:51]
	v_add_u32_e32 v4, 0x800, v158
	s_waitcnt lgkmcnt(0)
	s_barrier
	ds_read2_b64 v[8:11], v4 offset0:50 offset1:203
	v_add_u32_e32 v4, 0x1000, v158
	ds_read2_b64 v[0:3], v158 offset1:153
	ds_read2_b64 v[4:7], v4 offset0:100 offset1:253
	ds_read_b64 v[14:15], v158 offset:7344
	s_and_saveexec_b64 s[2:3], s[0:1]
	s_cbranch_execz .LBB0_21
; %bb.20:
	v_add_u32_e32 v13, 0x1400, v158
	ds_read2_b64 v[16:19], v13 offset0:91 offset1:244
	v_add_u32_e32 v12, 0x200, v158
	v_add_u32_e32 v13, 0xc00, v158
	ds_read2_b64 v[26:29], v13 offset0:41 offset1:194
	ds_read2_b64 v[34:37], v12 offset0:55 offset1:208
	ds_read_b64 v[12:13], v158 offset:8296
	s_waitcnt lgkmcnt(3)
	v_mov_b32_e32 v25, v17
	v_mov_b32_e32 v21, v19
	;; [unrolled: 1-line block ×3, first 2 shown]
	s_waitcnt lgkmcnt(2)
	v_mov_b32_e32 v33, v27
	s_waitcnt lgkmcnt(1)
	v_mov_b32_e32 v16, v34
	v_mov_b32_e32 v20, v18
	;; [unrolled: 1-line block ×4, first 2 shown]
.LBB0_21:
	s_or_b64 exec, exec, s[2:3]
	s_movk_i32 s2, 0xf1
	v_mul_lo_u16_sdwa v18, v164, s2 dst_sel:DWORD dst_unused:UNUSED_PAD src0_sel:BYTE_0 src1_sel:DWORD
	v_lshrrev_b16_e32 v18, 12, v18
	v_mul_lo_u16_e32 v19, 17, v18
	v_sub_u16_e32 v19, v164, v19
	v_mov_b32_e32 v22, 6
	v_mul_u32_u24_sdwa v23, v19, v22 dst_sel:DWORD dst_unused:UNUSED_PAD src0_sel:BYTE_0 src1_sel:DWORD
	v_lshlrev_b32_e32 v23, 4, v23
	global_load_dwordx4 v[38:41], v23, s[8:9] offset:16
	global_load_dwordx4 v[42:45], v23, s[8:9]
	global_load_dwordx4 v[58:61], v23, s[8:9] offset:48
	global_load_dwordx4 v[62:65], v23, s[8:9] offset:32
	;; [unrolled: 1-line block ×4, first 2 shown]
	v_add_u16_e32 v23, 0x77, v164
	v_mul_lo_u16_sdwa v26, v23, s2 dst_sel:DWORD dst_unused:UNUSED_PAD src0_sel:BYTE_0 src1_sel:DWORD
	v_lshrrev_b16_e32 v54, 12, v26
	v_mul_lo_u16_e32 v26, 17, v54
	v_sub_u16_e32 v55, v23, v26
	v_mul_u32_u24_sdwa v22, v55, v22 dst_sel:DWORD dst_unused:UNUSED_PAD src0_sel:BYTE_0 src1_sel:DWORD
	v_lshlrev_b32_e32 v22, 4, v22
	global_load_dwordx4 v[106:109], v22, s[8:9]
	global_load_dwordx4 v[110:113], v22, s[8:9] offset:16
	global_load_dwordx4 v[114:117], v22, s[8:9] offset:32
	;; [unrolled: 1-line block ×5, first 2 shown]
	v_mov_b32_e32 v57, 3
	v_mul_u32_u24_e32 v18, 0x3b8, v18
	v_lshlrev_b32_sdwa v19, v57, v19 dst_sel:DWORD dst_unused:UNUSED_PAD src0_sel:DWORD src1_sel:BYTE_0
	v_add3_u32 v56, 0, v18, v19
	s_mov_b32 s4, 0x37e14327
	s_mov_b32 s10, 0xe976ee23
	;; [unrolled: 1-line block ×20, first 2 shown]
	s_waitcnt vmcnt(0) lgkmcnt(0)
	s_barrier
	v_mul_f64 v[26:27], v[8:9], v[40:41]
	v_mul_f64 v[18:19], v[2:3], v[44:45]
	;; [unrolled: 1-line block ×11, first 2 shown]
	v_fma_f64 v[18:19], v[70:71], v[42:43], v[18:19]
	v_fma_f64 v[46:47], v[2:3], v[42:43], -v[22:23]
	v_fma_f64 v[44:45], v[76:77], v[38:39], v[26:27]
	v_fma_f64 v[2:3], v[96:97], v[98:99], v[50:51]
	;; [unrolled: 1-line block ×3, first 2 shown]
	v_mul_f64 v[66:67], v[96:97], v[100:101]
	v_fma_f64 v[8:9], v[8:9], v[38:39], -v[30:31]
	v_fma_f64 v[48:49], v[78:79], v[62:63], v[34:35]
	v_fma_f64 v[10:11], v[10:11], v[62:63], -v[40:41]
	v_fma_f64 v[52:53], v[6:7], v[102:103], -v[52:53]
	v_fma_f64 v[6:7], v[72:73], v[58:59], v[64:65]
	v_fma_f64 v[4:5], v[4:5], v[58:59], -v[60:61]
	v_add_f64 v[34:35], v[18:19], v[2:3]
	v_add_f64 v[38:39], v[44:45], v[50:51]
	v_fma_f64 v[14:15], v[14:15], v[98:99], -v[66:67]
	v_mul_f64 v[104:105], v[94:95], v[108:109]
	v_mul_f64 v[100:101], v[36:37], v[108:109]
	v_add_f64 v[58:59], v[8:9], -v[52:53]
	v_add_f64 v[60:61], v[48:49], v[6:7]
	v_add_f64 v[62:63], v[4:5], -v[10:11]
	v_mul_f64 v[108:109], v[32:33], v[112:113]
	v_add_f64 v[70:71], v[38:39], v[34:35]
	v_add_f64 v[66:67], v[46:47], -v[14:15]
	v_fma_f64 v[30:31], v[36:37], v[106:107], -v[104:105]
	v_mul_f64 v[112:113], v[92:93], v[112:113]
	v_mul_f64 v[130:131], v[28:29], v[116:117]
	v_add_f64 v[36:37], v[34:35], -v[60:61]
	v_add_f64 v[74:75], v[62:63], -v[58:59]
	;; [unrolled: 1-line block ×3, first 2 shown]
	v_add_f64 v[70:71], v[60:61], v[70:71]
	v_add_f64 v[76:77], v[58:59], -v[66:67]
	v_add_f64 v[60:61], v[60:61], -v[38:39]
	v_add_f64 v[58:59], v[62:63], v[58:59]
	v_add_f64 v[62:63], v[66:67], -v[62:63]
	v_mul_f64 v[36:37], v[36:37], s[4:5]
	v_mul_f64 v[74:75], v[74:75], s[10:11]
	;; [unrolled: 1-line block ×3, first 2 shown]
	v_add_f64 v[68:69], v[68:69], v[70:71]
	v_mul_f64 v[78:79], v[76:77], s[6:7]
	v_mul_f64 v[38:39], v[60:61], s[2:3]
	v_add_f64 v[58:59], v[58:59], v[66:67]
	v_mul_f64 v[132:133], v[24:25], v[120:121]
	v_fma_f64 v[60:61], v[60:61], s[2:3], v[36:37]
	v_fma_f64 v[66:67], v[62:63], s[22:23], v[74:75]
	v_fma_f64 v[74:75], v[76:77], s[6:7], -v[74:75]
	v_fma_f64 v[70:71], v[70:71], s[16:17], v[68:69]
	v_fma_f64 v[62:63], v[62:63], s[26:27], -v[78:79]
	v_fma_f64 v[36:37], v[34:35], s[20:21], -v[36:37]
	;; [unrolled: 1-line block ×3, first 2 shown]
	v_mul_f64 v[120:121], v[88:89], v[120:121]
	v_mul_f64 v[40:41], v[20:21], v[124:125]
	;; [unrolled: 1-line block ×5, first 2 shown]
	v_fma_f64 v[66:67], v[58:59], s[24:25], v[66:67]
	v_add_f64 v[60:61], v[60:61], v[70:71]
	v_fma_f64 v[74:75], v[58:59], s[24:25], v[74:75]
	v_fma_f64 v[58:59], v[58:59], s[24:25], v[62:63]
	v_add_f64 v[62:63], v[36:37], v[70:71]
	v_add_f64 v[70:71], v[38:39], v[70:71]
	v_fma_f64 v[22:23], v[94:95], v[106:107], v[100:101]
	v_fma_f64 v[26:27], v[92:93], v[110:111], v[108:109]
	v_fma_f64 v[32:33], v[32:33], v[110:111], -v[112:113]
	v_fma_f64 v[34:35], v[90:91], v[114:115], v[130:131]
	v_fma_f64 v[28:29], v[28:29], v[114:115], -v[116:117]
	v_fma_f64 v[36:37], v[88:89], v[118:119], v[132:133]
	v_fma_f64 v[24:25], v[24:25], v[118:119], -v[120:121]
	v_fma_f64 v[38:39], v[86:87], v[122:123], v[40:41]
	v_fma_f64 v[20:21], v[20:21], v[122:123], -v[42:43]
	v_fma_f64 v[40:41], v[84:85], v[126:127], v[64:65]
	v_add_f64 v[64:65], v[66:67], v[60:61]
	v_fma_f64 v[42:43], v[12:13], v[126:127], -v[72:73]
	v_add_f64 v[76:77], v[58:59], v[62:63]
	v_add_f64 v[78:79], v[70:71], -v[74:75]
	v_add_f64 v[70:71], v[74:75], v[70:71]
	v_add_f64 v[58:59], v[62:63], -v[58:59]
	v_add_f64 v[60:61], v[60:61], -v[66:67]
	ds_write2_b64 v56, v[68:69], v[64:65] offset1:17
	ds_write2_b64 v56, v[76:77], v[78:79] offset0:34 offset1:51
	ds_write2_b64 v56, v[70:71], v[58:59] offset0:68 offset1:85
	ds_write_b64 v56, v[60:61] offset:816
	s_and_saveexec_b64 s[28:29], s[0:1]
	s_cbranch_execz .LBB0_23
; %bb.22:
	v_add_f64 v[12:13], v[26:27], v[38:39]
	v_add_f64 v[58:59], v[22:23], v[40:41]
	v_add_f64 v[60:61], v[24:25], -v[28:29]
	v_add_f64 v[62:63], v[32:33], -v[20:21]
	v_add_f64 v[64:65], v[34:35], v[36:37]
	v_add_f64 v[66:67], v[30:31], -v[42:43]
	v_lshlrev_b32_sdwa v57, v57, v55 dst_sel:DWORD dst_unused:UNUSED_PAD src0_sel:DWORD src1_sel:BYTE_0
	v_add_f64 v[68:69], v[12:13], v[58:59]
	v_add_f64 v[70:71], v[60:61], -v[62:63]
	v_add_f64 v[72:73], v[58:59], -v[64:65]
	;; [unrolled: 1-line block ×4, first 2 shown]
	v_add_f64 v[62:63], v[60:61], v[62:63]
	v_add_f64 v[60:61], v[66:67], -v[60:61]
	v_add_f64 v[64:65], v[64:65], v[68:69]
	v_add_f64 v[12:13], v[12:13], -v[58:59]
	v_mul_f64 v[58:59], v[70:71], s[10:11]
	v_mul_f64 v[68:69], v[72:73], s[4:5]
	;; [unrolled: 1-line block ×4, first 2 shown]
	v_add_f64 v[62:63], v[62:63], v[66:67]
	v_add_f64 v[72:73], v[82:83], v[64:65]
	v_fma_f64 v[66:67], v[60:61], s[22:23], v[58:59]
	v_fma_f64 v[82:83], v[12:13], s[20:21], -v[68:69]
	v_fma_f64 v[60:61], v[60:61], s[26:27], -v[70:71]
	;; [unrolled: 1-line block ×4, first 2 shown]
	v_fma_f64 v[68:69], v[76:77], s[2:3], v[68:69]
	v_fma_f64 v[64:65], v[64:65], s[16:17], v[72:73]
	v_fma_f64 v[66:67], v[62:63], s[24:25], v[66:67]
	v_fma_f64 v[60:61], v[62:63], s[24:25], v[60:61]
	v_fma_f64 v[58:59], v[62:63], s[24:25], v[58:59]
	v_add_f64 v[62:63], v[82:83], v[64:65]
	v_add_f64 v[12:13], v[12:13], v[64:65]
	v_add_f64 v[64:65], v[68:69], v[64:65]
	v_add_f64 v[68:69], v[62:63], -v[60:61]
	v_add_f64 v[70:71], v[12:13], -v[58:59]
	v_add_f64 v[74:75], v[66:67], v[64:65]
	v_add_f64 v[60:61], v[60:61], v[62:63]
	;; [unrolled: 1-line block ×3, first 2 shown]
	v_add_f64 v[58:59], v[64:65], -v[66:67]
	v_mul_u32_u24_e32 v62, 0x3b8, v54
	v_add3_u32 v57, 0, v62, v57
	ds_write2_b64 v57, v[72:73], v[74:75] offset1:17
	ds_write2_b64 v57, v[60:61], v[70:71] offset0:34 offset1:51
	ds_write2_b64 v57, v[12:13], v[68:69] offset0:68 offset1:85
	ds_write_b64 v57, v[58:59] offset:816
.LBB0_23:
	s_or_b64 exec, exec, s[28:29]
	v_add_f64 v[12:13], v[46:47], v[14:15]
	v_add_f64 v[8:9], v[8:9], v[52:53]
	v_add_f64 v[14:15], v[44:45], -v[50:51]
	v_add_f64 v[4:5], v[10:11], v[4:5]
	v_add_f64 v[6:7], v[6:7], -v[48:49]
	v_add_f64 v[2:3], v[18:19], -v[2:3]
	v_add_u32_e32 v57, 0x400, v158
	s_waitcnt lgkmcnt(0)
	s_barrier
	v_add_f64 v[10:11], v[8:9], v[12:13]
	v_add_f64 v[18:19], v[12:13], -v[4:5]
	v_add_f64 v[44:45], v[6:7], -v[14:15]
	v_add_f64 v[46:47], v[14:15], -v[2:3]
	v_add_f64 v[14:15], v[6:7], v[14:15]
	v_add_f64 v[6:7], v[2:3], -v[6:7]
	v_add_u32_e32 v63, 0x1400, v158
	v_add_f64 v[10:11], v[4:5], v[10:11]
	v_add_f64 v[4:5], v[4:5], -v[8:9]
	v_mul_f64 v[18:19], v[18:19], s[4:5]
	v_mul_f64 v[44:45], v[44:45], s[10:11]
	;; [unrolled: 1-line block ×3, first 2 shown]
	v_add_f64 v[50:51], v[0:1], v[10:11]
	v_add_f64 v[0:1], v[8:9], -v[12:13]
	v_mul_f64 v[8:9], v[4:5], s[2:3]
	v_add_f64 v[12:13], v[14:15], v[2:3]
	v_fma_f64 v[4:5], v[4:5], s[2:3], v[18:19]
	v_fma_f64 v[14:15], v[6:7], s[22:23], v[44:45]
	v_fma_f64 v[44:45], v[46:47], s[6:7], -v[44:45]
	v_fma_f64 v[6:7], v[6:7], s[26:27], -v[48:49]
	v_fma_f64 v[10:11], v[10:11], s[16:17], v[50:51]
	v_fma_f64 v[18:19], v[0:1], s[20:21], -v[18:19]
	v_fma_f64 v[8:9], v[0:1], s[18:19], -v[8:9]
	ds_read2_b64 v[0:3], v158 offset1:119
	v_fma_f64 v[14:15], v[12:13], s[24:25], v[14:15]
	v_fma_f64 v[44:45], v[12:13], s[24:25], v[44:45]
	;; [unrolled: 1-line block ×3, first 2 shown]
	v_add_f64 v[46:47], v[4:5], v[10:11]
	v_add_f64 v[48:49], v[18:19], v[10:11]
	;; [unrolled: 1-line block ×3, first 2 shown]
	v_add_u32_e32 v8, 0xc00, v158
	ds_read_b64 v[18:19], v158 offset:7616
	ds_read2_b64 v[4:7], v57 offset0:110 offset1:229
	ds_read2_b64 v[8:11], v8 offset0:92 offset1:211
	v_add_f64 v[57:58], v[46:47], -v[14:15]
	v_add_f64 v[59:60], v[48:49], -v[12:13]
	v_add_f64 v[61:62], v[44:45], v[52:53]
	v_add_f64 v[44:45], v[52:53], -v[44:45]
	v_add_f64 v[48:49], v[12:13], v[48:49]
	v_add_f64 v[46:47], v[14:15], v[46:47]
	ds_read2_b64 v[12:15], v63 offset0:74 offset1:193
	s_waitcnt lgkmcnt(0)
	s_barrier
	ds_write2_b64 v56, v[50:51], v[57:58] offset1:17
	ds_write2_b64 v56, v[59:60], v[61:62] offset0:34 offset1:51
	ds_write2_b64 v56, v[44:45], v[48:49] offset0:68 offset1:85
	ds_write_b64 v56, v[46:47] offset:816
	s_and_saveexec_b64 s[2:3], s[0:1]
	s_cbranch_execz .LBB0_25
; %bb.24:
	v_add_f64 v[30:31], v[30:31], v[42:43]
	v_add_f64 v[20:21], v[32:33], v[20:21]
	;; [unrolled: 1-line block ×3, first 2 shown]
	v_add_f64 v[26:27], v[26:27], -v[38:39]
	v_add_f64 v[28:29], v[36:37], -v[34:35]
	;; [unrolled: 1-line block ×3, first 2 shown]
	s_mov_b32 s4, 0x36b3c0b5
	s_mov_b32 s0, 0x37e14327
	;; [unrolled: 1-line block ×3, first 2 shown]
	v_add_f64 v[32:33], v[20:21], v[30:31]
	v_add_f64 v[34:35], v[30:31], -v[24:25]
	s_mov_b32 s1, 0x3fe948f6
	v_add_f64 v[36:37], v[28:29], v[26:27]
	v_add_f64 v[38:39], v[28:29], -v[26:27]
	v_add_f64 v[26:27], v[26:27], -v[22:23]
	s_mov_b32 s6, 0xe976ee23
	s_mov_b32 s7, 0x3fe11646
	v_add_f64 v[32:33], v[24:25], v[32:33]
	v_add_f64 v[24:25], v[24:25], -v[20:21]
	v_add_f64 v[20:21], v[20:21], -v[30:31]
	s_mov_b32 s10, 0x429ad128
	v_mul_f64 v[34:35], v[34:35], s[0:1]
	s_mov_b32 s11, 0xbfebfeb5
	v_add_f64 v[28:29], v[22:23], -v[28:29]
	v_add_f64 v[22:23], v[36:37], v[22:23]
	v_add_f64 v[16:17], v[16:17], v[32:33]
	v_mul_f64 v[30:31], v[24:25], s[4:5]
	v_mul_f64 v[36:37], v[38:39], s[6:7]
	;; [unrolled: 1-line block ×3, first 2 shown]
	s_mov_b32 s1, 0x3fe77f67
	s_mov_b32 s0, 0x5476071b
	v_fma_f64 v[24:25], v[24:25], s[4:5], v[34:35]
	v_fma_f64 v[32:33], v[32:33], s[16:17], v[16:17]
	v_fma_f64 v[30:31], v[20:21], s[0:1], -v[30:31]
	s_mov_b32 s1, 0xbfe77f67
	v_fma_f64 v[20:21], v[20:21], s[0:1], -v[34:35]
	s_mov_b32 s1, 0xbfd5d0dc
	s_mov_b32 s0, 0xb247c609
	v_fma_f64 v[34:35], v[28:29], s[0:1], v[36:37]
	s_mov_b32 s1, 0x3fd5d0dc
	v_fma_f64 v[28:29], v[28:29], s[0:1], -v[38:39]
	v_fma_f64 v[26:27], v[26:27], s[10:11], -v[36:37]
	s_mov_b32 s0, 0x37c3f68c
	s_mov_b32 s1, 0xbfdc38aa
	v_add_f64 v[24:25], v[24:25], v[32:33]
	v_add_f64 v[30:31], v[30:31], v[32:33]
	;; [unrolled: 1-line block ×3, first 2 shown]
	v_fma_f64 v[32:33], v[22:23], s[0:1], v[34:35]
	v_fma_f64 v[28:29], v[22:23], s[0:1], v[28:29]
	;; [unrolled: 1-line block ×3, first 2 shown]
	v_add_f64 v[26:27], v[24:25], -v[32:33]
	v_add_f64 v[34:35], v[20:21], -v[28:29]
	v_add_f64 v[36:37], v[22:23], v[30:31]
	v_add_f64 v[22:23], v[30:31], -v[22:23]
	v_add_f64 v[20:21], v[28:29], v[20:21]
	v_add_f64 v[24:25], v[32:33], v[24:25]
	v_mov_b32_e32 v29, 3
	v_mul_u32_u24_e32 v28, 0x3b8, v54
	v_lshlrev_b32_sdwa v29, v29, v55 dst_sel:DWORD dst_unused:UNUSED_PAD src0_sel:DWORD src1_sel:BYTE_0
	v_add3_u32 v28, 0, v28, v29
	ds_write2_b64 v28, v[16:17], v[26:27] offset1:17
	ds_write2_b64 v28, v[34:35], v[36:37] offset0:34 offset1:51
	ds_write2_b64 v28, v[22:23], v[20:21] offset0:68 offset1:85
	ds_write_b64 v28, v[24:25] offset:816
.LBB0_25:
	s_or_b64 exec, exec, s[2:3]
	s_waitcnt lgkmcnt(0)
	s_barrier
	s_and_saveexec_b64 s[0:1], vcc
	s_cbranch_execz .LBB0_27
; %bb.26:
	v_lshlrev_b32_e32 v16, 3, v164
	v_mov_b32_e32 v17, 0
	v_lshlrev_b64 v[16:17], 4, v[16:17]
	v_mov_b32_e32 v20, s9
	v_add_co_u32_e32 v16, vcc, s8, v16
	v_addc_co_u32_e32 v17, vcc, v20, v17, vcc
	global_load_dwordx4 v[20:23], v[16:17], off offset:1664
	global_load_dwordx4 v[24:27], v[16:17], off offset:1712
	global_load_dwordx4 v[28:31], v[16:17], off offset:1648
	global_load_dwordx4 v[32:35], v[16:17], off offset:1728
	global_load_dwordx4 v[36:39], v[16:17], off offset:1680
	global_load_dwordx4 v[40:43], v[16:17], off offset:1696
	global_load_dwordx4 v[44:47], v[16:17], off offset:1632
	global_load_dwordx4 v[48:51], v[16:17], off offset:1744
	v_add_u32_e32 v56, 0x400, v158
	v_add_u32_e32 v60, 0x1400, v158
	;; [unrolled: 1-line block ×3, first 2 shown]
	ds_read2_b64 v[52:55], v158 offset1:119
	ds_read_b64 v[16:17], v158 offset:7616
	ds_read2_b64 v[56:59], v56 offset0:110 offset1:229
	ds_read2_b64 v[60:63], v60 offset0:74 offset1:193
	;; [unrolled: 1-line block ×3, first 2 shown]
	s_mov_b32 s2, 0x8c811c17
	s_mov_b32 s16, 0xa2cf5039
	;; [unrolled: 1-line block ×16, first 2 shown]
	s_waitcnt vmcnt(7)
	v_mul_f64 v[68:69], v[6:7], v[20:21]
	s_waitcnt vmcnt(6)
	v_mul_f64 v[70:71], v[12:13], v[24:25]
	s_waitcnt vmcnt(5)
	v_mul_f64 v[72:73], v[4:5], v[28:29]
	s_waitcnt vmcnt(4)
	v_mul_f64 v[74:75], v[14:15], v[32:33]
	s_waitcnt vmcnt(3)
	v_mul_f64 v[76:77], v[8:9], v[36:37]
	s_waitcnt vmcnt(2)
	v_mul_f64 v[78:79], v[10:11], v[40:41]
	v_mul_f64 v[4:5], v[4:5], v[30:31]
	v_mul_f64 v[14:15], v[14:15], v[34:35]
	s_waitcnt vmcnt(1)
	v_mul_f64 v[82:83], v[2:3], v[44:45]
	s_waitcnt vmcnt(0)
	v_mul_f64 v[84:85], v[18:19], v[48:49]
	v_mul_f64 v[8:9], v[8:9], v[38:39]
	;; [unrolled: 1-line block ×7, first 2 shown]
	s_waitcnt lgkmcnt(0)
	v_fma_f64 v[38:39], v[64:65], v[38:39], v[76:77]
	v_fma_f64 v[42:43], v[66:67], v[42:43], v[78:79]
	v_fma_f64 v[4:5], v[56:57], v[28:29], -v[4:5]
	v_fma_f64 v[14:15], v[62:63], v[32:33], -v[14:15]
	v_fma_f64 v[30:31], v[56:57], v[30:31], v[72:73]
	v_fma_f64 v[34:35], v[62:63], v[34:35], v[74:75]
	;; [unrolled: 1-line block ×4, first 2 shown]
	v_fma_f64 v[8:9], v[64:65], v[36:37], -v[8:9]
	v_fma_f64 v[10:11], v[66:67], v[40:41], -v[10:11]
	;; [unrolled: 1-line block ×6, first 2 shown]
	v_add_f64 v[24:25], v[38:39], -v[42:43]
	v_add_f64 v[36:37], v[4:5], v[14:15]
	v_fma_f64 v[22:23], v[58:59], v[22:23], v[68:69]
	v_fma_f64 v[26:27], v[60:61], v[26:27], v[70:71]
	v_add_f64 v[20:21], v[30:31], -v[34:35]
	v_add_f64 v[32:33], v[8:9], v[10:11]
	v_add_f64 v[40:41], v[6:7], v[12:13]
	;; [unrolled: 1-line block ×3, first 2 shown]
	v_add_f64 v[6:7], v[6:7], -v[12:13]
	v_add_f64 v[48:49], v[4:5], -v[14:15]
	;; [unrolled: 1-line block ×3, first 2 shown]
	v_add_f64 v[30:31], v[30:31], v[34:35]
	v_add_f64 v[4:5], v[46:47], v[50:51]
	v_mul_f64 v[12:13], v[24:25], s[2:3]
	v_fma_f64 v[14:15], v[36:37], s[16:17], v[52:53]
	v_add_f64 v[18:19], v[22:23], -v[26:27]
	v_add_f64 v[28:29], v[46:47], -v[50:51]
	;; [unrolled: 1-line block ×3, first 2 shown]
	v_add_f64 v[34:35], v[38:39], v[42:43]
	v_add_f64 v[22:23], v[22:23], v[26:27]
	v_mul_f64 v[16:17], v[54:55], s[2:3]
	v_fma_f64 v[26:27], v[30:31], s[16:17], v[0:1]
	v_add_f64 v[46:47], v[36:37], v[44:45]
	v_add_f64 v[50:51], v[30:31], v[4:5]
	v_fma_f64 v[12:13], v[20:21], s[6:7], -v[12:13]
	v_fma_f64 v[14:15], v[32:33], s[10:11], v[14:15]
	v_mul_f64 v[64:65], v[24:25], s[6:7]
	v_fma_f64 v[66:67], v[32:33], s[16:17], v[52:53]
	v_fma_f64 v[16:17], v[48:49], s[6:7], -v[16:17]
	v_fma_f64 v[26:27], v[34:35], s[10:11], v[26:27]
	v_add_f64 v[76:77], v[40:41], v[46:47]
	v_add_f64 v[78:79], v[22:23], v[50:51]
	v_fma_f64 v[12:13], v[18:19], s[0:1], v[12:13]
	v_fma_f64 v[14:15], v[40:41], -0.5, v[14:15]
	v_mul_f64 v[68:69], v[54:55], s[6:7]
	s_mov_b32 s7, 0x3fe491b7
	v_add_f64 v[56:57], v[24:25], v[28:29]
	v_add_f64 v[58:59], v[40:41], v[52:53]
	v_fma_f64 v[70:71], v[34:35], s[16:17], v[0:1]
	v_add_f64 v[46:47], v[32:33], v[46:47]
	v_fma_f64 v[64:65], v[28:29], s[2:3], v[64:65]
	v_fma_f64 v[16:17], v[6:7], s[0:1], v[16:17]
	v_fma_f64 v[26:27], v[22:23], -0.5, v[26:27]
	v_mul_f64 v[82:83], v[28:29], s[6:7]
	v_add_f64 v[8:9], v[8:9], v[76:77]
	v_add_f64 v[38:39], v[38:39], v[78:79]
	v_fma_f64 v[28:29], v[28:29], s[4:5], v[12:13]
	v_fma_f64 v[12:13], v[44:45], s[8:9], v[14:15]
	;; [unrolled: 1-line block ×4, first 2 shown]
	v_mul_f64 v[84:85], v[2:3], s[6:7]
	v_add_f64 v[62:63], v[0:1], v[22:23]
	v_add_f64 v[50:51], v[34:35], v[50:51]
	v_fma_f64 v[66:67], v[44:45], s[10:11], v[66:67]
	v_add_f64 v[60:61], v[54:55], v[2:3]
	v_add_f64 v[56:57], v[56:57], -v[20:21]
	v_fma_f64 v[68:69], v[2:3], s[2:3], v[68:69]
	v_fma_f64 v[70:71], v[4:5], s[10:11], v[70:71]
	;; [unrolled: 1-line block ×4, first 2 shown]
	v_fma_f64 v[16:17], v[46:47], -0.5, v[58:59]
	v_add_f64 v[10:11], v[10:11], v[8:9]
	v_add_f64 v[38:39], v[42:43], v[38:39]
	;; [unrolled: 1-line block ×3, first 2 shown]
	v_fma_f64 v[72:73], v[36:37], s[10:11], v[72:73]
	v_fma_f64 v[74:75], v[30:31], s[10:11], v[74:75]
	;; [unrolled: 1-line block ×4, first 2 shown]
	v_fma_f64 v[44:45], v[50:51], -0.5, v[62:63]
	v_fma_f64 v[50:51], v[20:21], s[2:3], v[82:83]
	v_fma_f64 v[42:43], v[40:41], -0.5, v[66:67]
	v_fma_f64 v[8:9], v[56:57], s[0:1], v[16:17]
	v_add_f64 v[12:13], v[52:53], v[10:11]
	v_add_f64 v[10:11], v[0:1], v[38:39]
	v_fma_f64 v[16:17], v[28:29], -2.0, v[4:5]
	v_fma_f64 v[0:1], v[6:7], s[18:19], v[68:69]
	v_fma_f64 v[28:29], v[22:23], -0.5, v[70:71]
	v_fma_f64 v[38:39], v[40:41], -0.5, v[72:73]
	v_fma_f64 v[40:41], v[20:21], s[4:5], v[46:47]
	v_fma_f64 v[6:7], v[6:7], s[0:1], v[58:59]
	v_fma_f64 v[20:21], v[22:23], -0.5, v[74:75]
	v_fma_f64 v[18:19], v[18:19], s[0:1], v[50:51]
	v_add_f64 v[60:61], v[60:61], -v[48:49]
	v_fma_f64 v[22:23], v[36:37], s[8:9], v[42:43]
	v_fma_f64 v[0:1], v[48:49], s[4:5], v[0:1]
	;; [unrolled: 1-line block ×3, first 2 shown]
	v_mul_f64 v[26:27], v[56:57], s[0:1]
	v_fma_f64 v[30:31], v[32:33], s[8:9], v[38:39]
	v_fma_f64 v[38:39], v[54:55], s[4:5], v[6:7]
	;; [unrolled: 1-line block ×4, first 2 shown]
	v_mul_f64 v[32:33], v[60:61], s[0:1]
	v_fma_f64 v[6:7], v[60:61], s[18:19], v[44:45]
	v_add_f64 v[20:21], v[40:41], v[22:23]
	v_add_f64 v[18:19], v[28:29], -v[0:1]
	v_mad_u64_u32 v[42:43], s[0:1], s12, v165, 0
	v_fma_f64 v[24:25], v[26:27], -2.0, v[8:9]
	v_add_f64 v[26:27], v[34:35], -v[38:39]
	v_add_f64 v[28:29], v[36:37], v[30:31]
	v_mov_b32_e32 v30, v43
	v_fma_f64 v[22:23], v[32:33], 2.0, v[6:7]
	v_fma_f64 v[32:33], v[40:41], -2.0, v[20:21]
	v_mad_u64_u32 v[40:41], s[0:1], s13, v165, v[30:31]
	v_fma_f64 v[30:31], v[0:1], 2.0, v[18:19]
	v_lshlrev_b64 v[0:1], 4, v[80:81]
	v_fma_f64 v[34:35], v[38:39], 2.0, v[26:27]
	v_mov_b32_e32 v43, v40
	v_mov_b32_e32 v38, s15
	v_add_co_u32_e32 v44, vcc, s14, v0
	v_add_u32_e32 v40, 0x77, v165
	v_addc_co_u32_e32 v45, vcc, v38, v1, vcc
	v_mad_u64_u32 v[38:39], s[0:1], s12, v40, 0
	v_lshlrev_b64 v[0:1], 4, v[42:43]
	v_add_u32_e32 v42, 0xee, v165
	v_mad_u64_u32 v[39:40], s[0:1], s13, v40, v[39:40]
	v_mad_u64_u32 v[40:41], s[0:1], s12, v42, 0
	v_add_co_u32_e32 v0, vcc, v44, v0
	v_addc_co_u32_e32 v1, vcc, v45, v1, vcc
	global_store_dwordx4 v[0:1], v[10:13], off
	v_lshlrev_b64 v[0:1], 4, v[38:39]
	v_mov_b32_e32 v10, v41
	v_mad_u64_u32 v[10:11], s[0:1], s13, v42, v[10:11]
	v_add_u32_e32 v12, 0x165, v165
	v_add_co_u32_e32 v0, vcc, v44, v0
	v_mov_b32_e32 v41, v10
	v_mad_u64_u32 v[10:11], s[0:1], s12, v12, 0
	v_addc_co_u32_e32 v1, vcc, v45, v1, vcc
	global_store_dwordx4 v[0:1], v[26:29], off
	v_lshlrev_b64 v[0:1], 4, v[40:41]
	v_mad_u64_u32 v[11:12], s[0:1], s13, v12, v[11:12]
	v_add_co_u32_e32 v0, vcc, v44, v0
	v_addc_co_u32_e32 v1, vcc, v45, v1, vcc
	v_add_u32_e32 v26, 0x1dc, v165
	v_mad_u64_u32 v[12:13], s[0:1], s12, v26, 0
	global_store_dwordx4 v[0:1], v[18:21], off
	v_lshlrev_b64 v[0:1], 4, v[10:11]
	v_mov_b32_e32 v10, v13
	v_add_co_u32_e32 v0, vcc, v44, v0
	v_addc_co_u32_e32 v1, vcc, v45, v1, vcc
	global_store_dwordx4 v[0:1], v[6:9], off
	v_mad_u64_u32 v[10:11], s[0:1], s13, v26, v[10:11]
	v_add_u32_e32 v8, 0x253, v165
	v_mad_u64_u32 v[6:7], s[0:1], s12, v8, 0
	v_add_f64 v[2:3], v[2:3], -v[14:15]
	v_mov_b32_e32 v13, v10
	v_mad_u64_u32 v[7:8], s[0:1], s13, v8, v[7:8]
	v_add_u32_e32 v10, 0x2ca, v165
	v_lshlrev_b64 v[0:1], 4, v[12:13]
	v_mad_u64_u32 v[8:9], s[0:1], s12, v10, 0
	v_add_co_u32_e32 v0, vcc, v44, v0
	v_addc_co_u32_e32 v1, vcc, v45, v1, vcc
	v_fma_f64 v[14:15], v[14:15], 2.0, v[2:3]
	global_store_dwordx4 v[0:1], v[2:5], off
	v_lshlrev_b64 v[0:1], 4, v[6:7]
	v_mov_b32_e32 v2, v9
	v_mad_u64_u32 v[2:3], s[0:1], s13, v10, v[2:3]
	v_add_u32_e32 v4, 0x341, v165
	v_add_co_u32_e32 v0, vcc, v44, v0
	v_mov_b32_e32 v9, v2
	v_mad_u64_u32 v[2:3], s[0:1], s12, v4, 0
	v_addc_co_u32_e32 v1, vcc, v45, v1, vcc
	v_mad_u64_u32 v[3:4], s[0:1], s13, v4, v[3:4]
	v_add_u32_e32 v6, 0x3b8, v165
	global_store_dwordx4 v[0:1], v[14:17], off
	v_lshlrev_b64 v[0:1], 4, v[8:9]
	v_mad_u64_u32 v[4:5], s[0:1], s12, v6, 0
	v_add_co_u32_e32 v0, vcc, v44, v0
	v_addc_co_u32_e32 v1, vcc, v45, v1, vcc
	global_store_dwordx4 v[0:1], v[22:25], off
	v_lshlrev_b64 v[0:1], 4, v[2:3]
	v_mov_b32_e32 v2, v5
	v_mad_u64_u32 v[2:3], s[0:1], s13, v6, v[2:3]
	v_fma_f64 v[36:37], v[36:37], -2.0, v[28:29]
	v_add_co_u32_e32 v0, vcc, v44, v0
	v_addc_co_u32_e32 v1, vcc, v45, v1, vcc
	v_mov_b32_e32 v5, v2
	global_store_dwordx4 v[0:1], v[30:33], off
	v_lshlrev_b64 v[0:1], 4, v[4:5]
	v_add_co_u32_e32 v0, vcc, v44, v0
	v_addc_co_u32_e32 v1, vcc, v45, v1, vcc
	global_store_dwordx4 v[0:1], v[34:37], off
.LBB0_27:
	s_endpgm
	.section	.rodata,"a",@progbits
	.p2align	6, 0x0
	.amdhsa_kernel fft_rtc_back_len1071_factors_17_7_9_wgs_119_tpt_119_halfLds_dp_ip_CI_sbrr_dirReg
		.amdhsa_group_segment_fixed_size 0
		.amdhsa_private_segment_fixed_size 0
		.amdhsa_kernarg_size 88
		.amdhsa_user_sgpr_count 6
		.amdhsa_user_sgpr_private_segment_buffer 1
		.amdhsa_user_sgpr_dispatch_ptr 0
		.amdhsa_user_sgpr_queue_ptr 0
		.amdhsa_user_sgpr_kernarg_segment_ptr 1
		.amdhsa_user_sgpr_dispatch_id 0
		.amdhsa_user_sgpr_flat_scratch_init 0
		.amdhsa_user_sgpr_private_segment_size 0
		.amdhsa_uses_dynamic_stack 0
		.amdhsa_system_sgpr_private_segment_wavefront_offset 0
		.amdhsa_system_sgpr_workgroup_id_x 1
		.amdhsa_system_sgpr_workgroup_id_y 0
		.amdhsa_system_sgpr_workgroup_id_z 0
		.amdhsa_system_sgpr_workgroup_info 0
		.amdhsa_system_vgpr_workitem_id 0
		.amdhsa_next_free_vgpr 222
		.amdhsa_next_free_sgpr 60
		.amdhsa_reserve_vcc 1
		.amdhsa_reserve_flat_scratch 0
		.amdhsa_float_round_mode_32 0
		.amdhsa_float_round_mode_16_64 0
		.amdhsa_float_denorm_mode_32 3
		.amdhsa_float_denorm_mode_16_64 3
		.amdhsa_dx10_clamp 1
		.amdhsa_ieee_mode 1
		.amdhsa_fp16_overflow 0
		.amdhsa_exception_fp_ieee_invalid_op 0
		.amdhsa_exception_fp_denorm_src 0
		.amdhsa_exception_fp_ieee_div_zero 0
		.amdhsa_exception_fp_ieee_overflow 0
		.amdhsa_exception_fp_ieee_underflow 0
		.amdhsa_exception_fp_ieee_inexact 0
		.amdhsa_exception_int_div_zero 0
	.end_amdhsa_kernel
	.text
.Lfunc_end0:
	.size	fft_rtc_back_len1071_factors_17_7_9_wgs_119_tpt_119_halfLds_dp_ip_CI_sbrr_dirReg, .Lfunc_end0-fft_rtc_back_len1071_factors_17_7_9_wgs_119_tpt_119_halfLds_dp_ip_CI_sbrr_dirReg
                                        ; -- End function
	.section	.AMDGPU.csdata,"",@progbits
; Kernel info:
; codeLenInByte = 13812
; NumSgprs: 64
; NumVgprs: 222
; ScratchSize: 0
; MemoryBound: 1
; FloatMode: 240
; IeeeMode: 1
; LDSByteSize: 0 bytes/workgroup (compile time only)
; SGPRBlocks: 7
; VGPRBlocks: 55
; NumSGPRsForWavesPerEU: 64
; NumVGPRsForWavesPerEU: 222
; Occupancy: 1
; WaveLimiterHint : 1
; COMPUTE_PGM_RSRC2:SCRATCH_EN: 0
; COMPUTE_PGM_RSRC2:USER_SGPR: 6
; COMPUTE_PGM_RSRC2:TRAP_HANDLER: 0
; COMPUTE_PGM_RSRC2:TGID_X_EN: 1
; COMPUTE_PGM_RSRC2:TGID_Y_EN: 0
; COMPUTE_PGM_RSRC2:TGID_Z_EN: 0
; COMPUTE_PGM_RSRC2:TIDIG_COMP_CNT: 0
	.type	__hip_cuid_5b9a05be4aab1bf9,@object ; @__hip_cuid_5b9a05be4aab1bf9
	.section	.bss,"aw",@nobits
	.globl	__hip_cuid_5b9a05be4aab1bf9
__hip_cuid_5b9a05be4aab1bf9:
	.byte	0                               ; 0x0
	.size	__hip_cuid_5b9a05be4aab1bf9, 1

	.ident	"AMD clang version 19.0.0git (https://github.com/RadeonOpenCompute/llvm-project roc-6.4.0 25133 c7fe45cf4b819c5991fe208aaa96edf142730f1d)"
	.section	".note.GNU-stack","",@progbits
	.addrsig
	.addrsig_sym __hip_cuid_5b9a05be4aab1bf9
	.amdgpu_metadata
---
amdhsa.kernels:
  - .args:
      - .actual_access:  read_only
        .address_space:  global
        .offset:         0
        .size:           8
        .value_kind:     global_buffer
      - .offset:         8
        .size:           8
        .value_kind:     by_value
      - .actual_access:  read_only
        .address_space:  global
        .offset:         16
        .size:           8
        .value_kind:     global_buffer
      - .actual_access:  read_only
        .address_space:  global
        .offset:         24
        .size:           8
        .value_kind:     global_buffer
      - .offset:         32
        .size:           8
        .value_kind:     by_value
      - .actual_access:  read_only
        .address_space:  global
        .offset:         40
        .size:           8
        .value_kind:     global_buffer
      - .actual_access:  read_only
        .address_space:  global
        .offset:         48
        .size:           8
        .value_kind:     global_buffer
      - .offset:         56
        .size:           4
        .value_kind:     by_value
      - .actual_access:  read_only
        .address_space:  global
        .offset:         64
        .size:           8
        .value_kind:     global_buffer
      - .actual_access:  read_only
        .address_space:  global
        .offset:         72
        .size:           8
        .value_kind:     global_buffer
      - .address_space:  global
        .offset:         80
        .size:           8
        .value_kind:     global_buffer
    .group_segment_fixed_size: 0
    .kernarg_segment_align: 8
    .kernarg_segment_size: 88
    .language:       OpenCL C
    .language_version:
      - 2
      - 0
    .max_flat_workgroup_size: 119
    .name:           fft_rtc_back_len1071_factors_17_7_9_wgs_119_tpt_119_halfLds_dp_ip_CI_sbrr_dirReg
    .private_segment_fixed_size: 0
    .sgpr_count:     64
    .sgpr_spill_count: 0
    .symbol:         fft_rtc_back_len1071_factors_17_7_9_wgs_119_tpt_119_halfLds_dp_ip_CI_sbrr_dirReg.kd
    .uniform_work_group_size: 1
    .uses_dynamic_stack: false
    .vgpr_count:     222
    .vgpr_spill_count: 0
    .wavefront_size: 64
amdhsa.target:   amdgcn-amd-amdhsa--gfx906
amdhsa.version:
  - 1
  - 2
...

	.end_amdgpu_metadata
